;; amdgpu-corpus repo=ROCm/rocFFT kind=compiled arch=gfx1030 opt=O3
	.text
	.amdgcn_target "amdgcn-amd-amdhsa--gfx1030"
	.amdhsa_code_object_version 6
	.protected	fft_rtc_fwd_len2016_factors_2_2_2_2_2_3_3_7_wgs_224_tpt_112_halfLds_dp_op_CI_CI_unitstride_sbrr_dirReg ; -- Begin function fft_rtc_fwd_len2016_factors_2_2_2_2_2_3_3_7_wgs_224_tpt_112_halfLds_dp_op_CI_CI_unitstride_sbrr_dirReg
	.globl	fft_rtc_fwd_len2016_factors_2_2_2_2_2_3_3_7_wgs_224_tpt_112_halfLds_dp_op_CI_CI_unitstride_sbrr_dirReg
	.p2align	8
	.type	fft_rtc_fwd_len2016_factors_2_2_2_2_2_3_3_7_wgs_224_tpt_112_halfLds_dp_op_CI_CI_unitstride_sbrr_dirReg,@function
fft_rtc_fwd_len2016_factors_2_2_2_2_2_3_3_7_wgs_224_tpt_112_halfLds_dp_op_CI_CI_unitstride_sbrr_dirReg: ; @fft_rtc_fwd_len2016_factors_2_2_2_2_2_3_3_7_wgs_224_tpt_112_halfLds_dp_op_CI_CI_unitstride_sbrr_dirReg
; %bb.0:
	s_clause 0x2
	s_load_dwordx4 s[8:11], s[4:5], 0x0
	s_load_dwordx4 s[12:15], s[4:5], 0x58
	;; [unrolled: 1-line block ×3, first 2 shown]
	v_mul_u32_u24_e32 v1, 0x24a, v0
	v_mov_b32_e32 v4, 0
	v_mov_b32_e32 v5, 0
	v_lshrrev_b32_e32 v72, 16, v1
	v_mov_b32_e32 v1, 0
	v_lshl_add_u32 v6, s6, 1, v72
	v_mov_b32_e32 v7, v1
	s_waitcnt lgkmcnt(0)
	v_cmp_lt_u64_e64 s0, s[10:11], 2
	s_and_b32 vcc_lo, exec_lo, s0
	s_cbranch_vccnz .LBB0_8
; %bb.1:
	s_load_dwordx2 s[0:1], s[4:5], 0x10
	v_mov_b32_e32 v4, 0
	v_mov_b32_e32 v5, 0
	s_add_u32 s2, s18, 8
	s_addc_u32 s3, s19, 0
	s_add_u32 s6, s16, 8
	s_addc_u32 s7, s17, 0
	v_mov_b32_e32 v97, v5
	v_mov_b32_e32 v96, v4
	s_mov_b64 s[22:23], 1
	s_waitcnt lgkmcnt(0)
	s_add_u32 s20, s0, 8
	s_addc_u32 s21, s1, 0
.LBB0_2:                                ; =>This Inner Loop Header: Depth=1
	s_load_dwordx2 s[24:25], s[20:21], 0x0
                                        ; implicit-def: $vgpr98_vgpr99
	s_mov_b32 s0, exec_lo
	s_waitcnt lgkmcnt(0)
	v_or_b32_e32 v2, s25, v7
	v_cmpx_ne_u64_e32 0, v[1:2]
	s_xor_b32 s1, exec_lo, s0
	s_cbranch_execz .LBB0_4
; %bb.3:                                ;   in Loop: Header=BB0_2 Depth=1
	v_cvt_f32_u32_e32 v2, s24
	v_cvt_f32_u32_e32 v3, s25
	s_sub_u32 s0, 0, s24
	s_subb_u32 s26, 0, s25
	v_fmac_f32_e32 v2, 0x4f800000, v3
	v_rcp_f32_e32 v2, v2
	v_mul_f32_e32 v2, 0x5f7ffffc, v2
	v_mul_f32_e32 v3, 0x2f800000, v2
	v_trunc_f32_e32 v3, v3
	v_fmac_f32_e32 v2, 0xcf800000, v3
	v_cvt_u32_f32_e32 v3, v3
	v_cvt_u32_f32_e32 v2, v2
	v_mul_lo_u32 v8, s0, v3
	v_mul_hi_u32 v9, s0, v2
	v_mul_lo_u32 v10, s26, v2
	v_add_nc_u32_e32 v8, v9, v8
	v_mul_lo_u32 v9, s0, v2
	v_add_nc_u32_e32 v8, v8, v10
	v_mul_hi_u32 v10, v2, v9
	v_mul_lo_u32 v11, v2, v8
	v_mul_hi_u32 v12, v2, v8
	v_mul_hi_u32 v13, v3, v9
	v_mul_lo_u32 v9, v3, v9
	v_mul_hi_u32 v14, v3, v8
	v_mul_lo_u32 v8, v3, v8
	v_add_co_u32 v10, vcc_lo, v10, v11
	v_add_co_ci_u32_e32 v11, vcc_lo, 0, v12, vcc_lo
	v_add_co_u32 v9, vcc_lo, v10, v9
	v_add_co_ci_u32_e32 v9, vcc_lo, v11, v13, vcc_lo
	v_add_co_ci_u32_e32 v10, vcc_lo, 0, v14, vcc_lo
	v_add_co_u32 v8, vcc_lo, v9, v8
	v_add_co_ci_u32_e32 v9, vcc_lo, 0, v10, vcc_lo
	v_add_co_u32 v2, vcc_lo, v2, v8
	v_add_co_ci_u32_e32 v3, vcc_lo, v3, v9, vcc_lo
	v_mul_hi_u32 v8, s0, v2
	v_mul_lo_u32 v10, s26, v2
	v_mul_lo_u32 v9, s0, v3
	v_add_nc_u32_e32 v8, v8, v9
	v_mul_lo_u32 v9, s0, v2
	v_add_nc_u32_e32 v8, v8, v10
	v_mul_hi_u32 v10, v2, v9
	v_mul_lo_u32 v11, v2, v8
	v_mul_hi_u32 v12, v2, v8
	v_mul_hi_u32 v13, v3, v9
	v_mul_lo_u32 v9, v3, v9
	v_mul_hi_u32 v14, v3, v8
	v_mul_lo_u32 v8, v3, v8
	v_add_co_u32 v10, vcc_lo, v10, v11
	v_add_co_ci_u32_e32 v11, vcc_lo, 0, v12, vcc_lo
	v_add_co_u32 v9, vcc_lo, v10, v9
	v_add_co_ci_u32_e32 v9, vcc_lo, v11, v13, vcc_lo
	v_add_co_ci_u32_e32 v10, vcc_lo, 0, v14, vcc_lo
	v_add_co_u32 v8, vcc_lo, v9, v8
	v_add_co_ci_u32_e32 v9, vcc_lo, 0, v10, vcc_lo
	v_add_co_u32 v8, vcc_lo, v2, v8
	v_add_co_ci_u32_e32 v10, vcc_lo, v3, v9, vcc_lo
	v_mul_hi_u32 v12, v6, v8
	v_mad_u64_u32 v[8:9], null, v7, v8, 0
	v_mad_u64_u32 v[2:3], null, v6, v10, 0
	v_mad_u64_u32 v[10:11], null, v7, v10, 0
	v_add_co_u32 v2, vcc_lo, v12, v2
	v_add_co_ci_u32_e32 v3, vcc_lo, 0, v3, vcc_lo
	v_add_co_u32 v2, vcc_lo, v2, v8
	v_add_co_ci_u32_e32 v2, vcc_lo, v3, v9, vcc_lo
	v_add_co_ci_u32_e32 v3, vcc_lo, 0, v11, vcc_lo
	v_add_co_u32 v8, vcc_lo, v2, v10
	v_add_co_ci_u32_e32 v9, vcc_lo, 0, v3, vcc_lo
	v_mul_lo_u32 v10, s25, v8
	v_mad_u64_u32 v[2:3], null, s24, v8, 0
	v_mul_lo_u32 v11, s24, v9
	v_sub_co_u32 v2, vcc_lo, v6, v2
	v_add3_u32 v3, v3, v11, v10
	v_sub_nc_u32_e32 v10, v7, v3
	v_subrev_co_ci_u32_e64 v10, s0, s25, v10, vcc_lo
	v_add_co_u32 v11, s0, v8, 2
	v_add_co_ci_u32_e64 v12, s0, 0, v9, s0
	v_sub_co_u32 v13, s0, v2, s24
	v_sub_co_ci_u32_e32 v3, vcc_lo, v7, v3, vcc_lo
	v_subrev_co_ci_u32_e64 v10, s0, 0, v10, s0
	v_cmp_le_u32_e32 vcc_lo, s24, v13
	v_cmp_eq_u32_e64 s0, s25, v3
	v_cndmask_b32_e64 v13, 0, -1, vcc_lo
	v_cmp_le_u32_e32 vcc_lo, s25, v10
	v_cndmask_b32_e64 v14, 0, -1, vcc_lo
	v_cmp_le_u32_e32 vcc_lo, s24, v2
	;; [unrolled: 2-line block ×3, first 2 shown]
	v_cndmask_b32_e64 v15, 0, -1, vcc_lo
	v_cmp_eq_u32_e32 vcc_lo, s25, v10
	v_cndmask_b32_e64 v2, v15, v2, s0
	v_cndmask_b32_e32 v10, v14, v13, vcc_lo
	v_add_co_u32 v13, vcc_lo, v8, 1
	v_add_co_ci_u32_e32 v14, vcc_lo, 0, v9, vcc_lo
	v_cmp_ne_u32_e32 vcc_lo, 0, v10
	v_cndmask_b32_e32 v3, v14, v12, vcc_lo
	v_cndmask_b32_e32 v10, v13, v11, vcc_lo
	v_cmp_ne_u32_e32 vcc_lo, 0, v2
	v_cndmask_b32_e32 v99, v9, v3, vcc_lo
	v_cndmask_b32_e32 v98, v8, v10, vcc_lo
.LBB0_4:                                ;   in Loop: Header=BB0_2 Depth=1
	s_andn2_saveexec_b32 s0, s1
	s_cbranch_execz .LBB0_6
; %bb.5:                                ;   in Loop: Header=BB0_2 Depth=1
	v_cvt_f32_u32_e32 v2, s24
	s_sub_i32 s1, 0, s24
	v_mov_b32_e32 v99, v1
	v_rcp_iflag_f32_e32 v2, v2
	v_mul_f32_e32 v2, 0x4f7ffffe, v2
	v_cvt_u32_f32_e32 v2, v2
	v_mul_lo_u32 v3, s1, v2
	v_mul_hi_u32 v3, v2, v3
	v_add_nc_u32_e32 v2, v2, v3
	v_mul_hi_u32 v2, v6, v2
	v_mul_lo_u32 v3, v2, s24
	v_add_nc_u32_e32 v8, 1, v2
	v_sub_nc_u32_e32 v3, v6, v3
	v_subrev_nc_u32_e32 v9, s24, v3
	v_cmp_le_u32_e32 vcc_lo, s24, v3
	v_cndmask_b32_e32 v3, v3, v9, vcc_lo
	v_cndmask_b32_e32 v2, v2, v8, vcc_lo
	v_cmp_le_u32_e32 vcc_lo, s24, v3
	v_add_nc_u32_e32 v8, 1, v2
	v_cndmask_b32_e32 v98, v2, v8, vcc_lo
.LBB0_6:                                ;   in Loop: Header=BB0_2 Depth=1
	s_or_b32 exec_lo, exec_lo, s0
	v_mul_lo_u32 v8, v99, s24
	v_mul_lo_u32 v9, v98, s25
	s_load_dwordx2 s[0:1], s[6:7], 0x0
	v_mad_u64_u32 v[2:3], null, v98, s24, 0
	s_load_dwordx2 s[24:25], s[2:3], 0x0
	s_add_u32 s22, s22, 1
	s_addc_u32 s23, s23, 0
	s_add_u32 s2, s2, 8
	s_addc_u32 s3, s3, 0
	s_add_u32 s6, s6, 8
	v_add3_u32 v3, v3, v9, v8
	v_sub_co_u32 v2, vcc_lo, v6, v2
	s_addc_u32 s7, s7, 0
	s_add_u32 s20, s20, 8
	v_sub_co_ci_u32_e32 v3, vcc_lo, v7, v3, vcc_lo
	s_addc_u32 s21, s21, 0
	s_waitcnt lgkmcnt(0)
	v_mul_lo_u32 v6, s0, v3
	v_mul_lo_u32 v7, s1, v2
	v_mad_u64_u32 v[4:5], null, s0, v2, v[4:5]
	v_mul_lo_u32 v3, s24, v3
	v_mul_lo_u32 v8, s25, v2
	v_mad_u64_u32 v[96:97], null, s24, v2, v[96:97]
	v_cmp_ge_u64_e64 s0, s[22:23], s[10:11]
	v_add3_u32 v5, v7, v5, v6
	v_add3_u32 v97, v8, v97, v3
	s_and_b32 vcc_lo, exec_lo, s0
	s_cbranch_vccnz .LBB0_9
; %bb.7:                                ;   in Loop: Header=BB0_2 Depth=1
	v_mov_b32_e32 v6, v98
	v_mov_b32_e32 v7, v99
	s_branch .LBB0_2
.LBB0_8:
	v_mov_b32_e32 v97, v5
	v_mov_b32_e32 v99, v7
	;; [unrolled: 1-line block ×4, first 2 shown]
.LBB0_9:
	s_load_dwordx2 s[0:1], s[4:5], 0x28
	v_mul_hi_u32 v1, 0x2492493, v0
	s_lshl_b64 s[4:5], s[10:11], 3
                                        ; implicit-def: $vgpr160
                                        ; implicit-def: $vgpr78
	s_add_u32 s2, s18, s4
	s_addc_u32 s3, s19, s5
	s_waitcnt lgkmcnt(0)
	v_cmp_gt_u64_e32 vcc_lo, s[0:1], v[98:99]
	v_cmp_le_u64_e64 s0, s[0:1], v[98:99]
	s_and_saveexec_b32 s1, s0
	s_xor_b32 s0, exec_lo, s1
; %bb.10:
	v_mul_u32_u24_e32 v1, 0x70, v1
                                        ; implicit-def: $vgpr4_vgpr5
	v_sub_nc_u32_e32 v160, v0, v1
                                        ; implicit-def: $vgpr1
                                        ; implicit-def: $vgpr0
	v_or_b32_e32 v78, 0x380, v160
; %bb.11:
	s_or_saveexec_b32 s1, s0
                                        ; implicit-def: $vgpr54_vgpr55
                                        ; implicit-def: $vgpr34_vgpr35
                                        ; implicit-def: $vgpr58_vgpr59
                                        ; implicit-def: $vgpr38_vgpr39
                                        ; implicit-def: $vgpr62_vgpr63
                                        ; implicit-def: $vgpr42_vgpr43
                                        ; implicit-def: $vgpr66_vgpr67
                                        ; implicit-def: $vgpr46_vgpr47
                                        ; implicit-def: $vgpr70_vgpr71
                                        ; implicit-def: $vgpr50_vgpr51
                                        ; implicit-def: $vgpr18_vgpr19
                                        ; implicit-def: $vgpr6_vgpr7
                                        ; implicit-def: $vgpr22_vgpr23
                                        ; implicit-def: $vgpr10_vgpr11
                                        ; implicit-def: $vgpr26_vgpr27
                                        ; implicit-def: $vgpr2_vgpr3
                                        ; implicit-def: $vgpr30_vgpr31
                                        ; implicit-def: $vgpr14_vgpr15
	s_xor_b32 exec_lo, exec_lo, s1
	s_cbranch_execz .LBB0_13
; %bb.12:
	s_add_u32 s4, s16, s4
	s_addc_u32 s5, s17, s5
	s_load_dwordx2 s[4:5], s[4:5], 0x0
	s_waitcnt lgkmcnt(0)
	v_mul_lo_u32 v6, s5, v98
	v_mul_lo_u32 v7, s4, v99
	v_mad_u64_u32 v[2:3], null, s4, v98, 0
	v_add3_u32 v3, v3, v7, v6
	v_mul_u32_u24_e32 v6, 0x70, v1
	v_lshlrev_b64 v[1:2], 4, v[2:3]
	v_lshlrev_b64 v[3:4], 4, v[4:5]
	v_sub_nc_u32_e32 v160, v0, v6
	v_add_co_u32 v0, s0, s12, v1
	v_add_co_ci_u32_e64 v1, s0, s13, v2, s0
	v_lshlrev_b32_e32 v44, 4, v160
	v_add_co_u32 v45, s0, v0, v3
	v_add_co_ci_u32_e64 v46, s0, v1, v4, s0
	v_or_b32_e32 v78, 0x380, v160
	v_add_co_u32 v32, s0, v45, v44
	v_add_co_ci_u32_e64 v33, s0, 0, v46, s0
	v_or_b32_e32 v44, 0x7000, v44
	v_add_co_u32 v4, s0, 0x3800, v32
	v_add_co_ci_u32_e64 v5, s0, 0, v33, s0
	v_add_co_u32 v6, s0, 0x4000, v32
	v_add_co_ci_u32_e64 v7, s0, 0, v33, s0
	;; [unrolled: 2-line block ×7, first 2 shown]
	s_clause 0x7
	global_load_dwordx4 v[12:15], v[32:33], off
	global_load_dwordx4 v[0:3], v[32:33], off offset:1792
	global_load_dwordx4 v[28:31], v[4:5], off offset:1792
	;; [unrolled: 1-line block ×7, first 2 shown]
	v_add_co_u32 v34, s0, 0x5800, v32
	v_add_co_ci_u32_e64 v35, s0, 0, v33, s0
	v_add_co_u32 v38, s0, 0x2000, v32
	v_add_co_ci_u32_e64 v39, s0, 0, v33, s0
	;; [unrolled: 2-line block ×5, first 2 shown]
	v_add_co_u32 v54, s0, 0x3000, v32
	v_lshlrev_b32_e32 v47, 4, v78
	v_add_co_ci_u32_e64 v55, s0, 0, v33, s0
	v_add_co_u32 v56, s0, v45, v44
	v_add_co_ci_u32_e64 v57, s0, 0, v46, s0
	v_add_co_u32 v73, s0, v45, v47
	v_add_co_ci_u32_e64 v74, s0, 0, v46, s0
	v_add_co_u32 v75, s0, 0x7000, v32
	v_add_co_ci_u32_e64 v76, s0, 0, v33, s0
	s_clause 0x9
	global_load_dwordx4 v[48:51], v[36:37], off offset:1024
	global_load_dwordx4 v[68:71], v[34:35], off offset:768
	;; [unrolled: 1-line block ×7, first 2 shown]
	global_load_dwordx4 v[56:59], v[56:57], off
	global_load_dwordx4 v[32:35], v[73:74], off
	global_load_dwordx4 v[52:55], v[75:76], off offset:1792
.LBB0_13:
	s_or_b32 exec_lo, exec_lo, s1
	s_waitcnt vmcnt(10)
	v_add_f64 v[106:107], v[4:5], -v[16:17]
	v_add_f64 v[81:82], v[12:13], -v[28:29]
	;; [unrolled: 1-line block ×3, first 2 shown]
	s_waitcnt vmcnt(2)
	v_add_f64 v[122:123], v[36:37], -v[56:57]
	s_waitcnt vmcnt(0)
	v_add_f64 v[126:127], v[32:33], -v[52:53]
	v_add_f64 v[91:92], v[0:1], -v[24:25]
	;; [unrolled: 1-line block ×4, first 2 shown]
	v_and_b32_e32 v20, 1, v72
	v_add_f64 v[16:17], v[14:15], -v[30:31]
	v_add_f64 v[118:119], v[40:41], -v[60:61]
	;; [unrolled: 1-line block ×4, first 2 shown]
	v_cmp_eq_u32_e64 s0, 1, v20
	v_add_f64 v[20:21], v[50:51], -v[70:71]
	v_lshlrev_b32_e32 v30, 3, v160
	v_add_nc_u32_e32 v84, 0x70, v160
	v_add_nc_u32_e32 v161, 0xe0, v160
	v_cndmask_b32_e64 v88, 0, 0x3f00, s0
	v_add_nc_u32_e32 v75, 0x150, v160
	v_add_nc_u32_e32 v74, 0x1c0, v160
	v_add_nc_u32_e32 v77, 0x230, v160
	v_fma_f64 v[104:105], v[4:5], 2.0, -v[106:107]
	v_add_f64 v[4:5], v[2:3], -v[26:27]
	v_fma_f64 v[79:80], v[12:13], 2.0, -v[81:82]
	v_add_f64 v[12:13], v[10:11], -v[22:23]
	;; [unrolled: 2-line block ×5, first 2 shown]
	v_add_nc_u32_e32 v76, 0, v88
	v_fma_f64 v[89:90], v[0:1], 2.0, -v[91:92]
	v_fma_f64 v[108:109], v[48:49], 2.0, -v[110:111]
	;; [unrolled: 1-line block ×4, first 2 shown]
	v_lshl_add_u32 v132, v78, 4, v76
	v_lshlrev_b32_e32 v18, 3, v78
	v_fma_f64 v[116:117], v[40:41], 2.0, -v[118:119]
	v_fma_f64 v[22:23], v[46:47], 2.0, -v[24:25]
	;; [unrolled: 1-line block ×3, first 2 shown]
	v_add3_u32 v85, 0, v30, v88
	v_sub_nc_u32_e32 v69, v132, v18
	v_fma_f64 v[18:19], v[50:51], 2.0, -v[20:21]
	v_fma_f64 v[2:3], v[2:3], 2.0, -v[4:5]
	v_add_nc_u32_e32 v86, v76, v30
	v_fma_f64 v[10:11], v[10:11], 2.0, -v[12:13]
	v_add_nc_u32_e32 v83, 0x2a0, v160
	;; [unrolled: 2-line block ×3, first 2 shown]
	v_fma_f64 v[34:35], v[34:35], 2.0, -v[36:37]
	v_lshl_add_u32 v0, v160, 4, v76
	v_fma_f64 v[30:31], v[38:39], 2.0, -v[32:33]
	v_lshl_add_u32 v1, v84, 4, v76
	v_lshl_add_u32 v94, v161, 4, v76
	;; [unrolled: 1-line block ×7, first 2 shown]
	ds_write_b128 v0, v[79:82]
	ds_write_b128 v1, v[89:92]
	;; [unrolled: 1-line block ×9, first 2 shown]
	v_add_nc_u32_e32 v70, 0x1800, v85
	v_and_b32_e32 v92, 1, v160
	v_add_nc_u32_e32 v68, 0x2000, v85
	v_add_nc_u32_e32 v89, 0x800, v85
	;; [unrolled: 1-line block ×3, first 2 shown]
	s_load_dwordx2 s[2:3], s[2:3], 0x0
	s_waitcnt lgkmcnt(0)
	s_barrier
	buffer_gl0_inv
	v_add_nc_u32_e32 v72, 0x1000, v85
	v_add_nc_u32_e32 v87, 0x3000, v85
	;; [unrolled: 1-line block ×3, first 2 shown]
	ds_read_b64 v[66:67], v86
	ds_read_b64 v[90:91], v69
	ds_read2_b64 v[38:41], v70 offset0:16 offset1:240
	ds_read2_b64 v[42:45], v85 offset0:112 offset1:224
	;; [unrolled: 1-line block ×7, first 2 shown]
	ds_read2_b64 v[79:82], v71 offset1:112
	s_waitcnt lgkmcnt(0)
	s_barrier
	buffer_gl0_inv
	ds_write_b128 v0, v[14:17]
	ds_write_b128 v1, v[2:5]
	;; [unrolled: 1-line block ×4, first 2 shown]
	v_lshlrev_b32_e32 v0, 4, v92
	ds_write_b128 v128, v[18:21]
	ds_write_b128 v129, v[22:25]
	;; [unrolled: 1-line block ×5, first 2 shown]
	s_waitcnt lgkmcnt(0)
	s_barrier
	buffer_gl0_inv
	global_load_dwordx4 v[9:12], v0, s[8:9]
	ds_read2_b64 v[13:16], v70 offset0:16 offset1:240
	ds_read2_b64 v[17:20], v68 offset0:96 offset1:208
	;; [unrolled: 1-line block ×4, first 2 shown]
	ds_read2_b64 v[29:32], v71 offset1:112
	v_lshlrev_b32_e32 v0, 1, v160
	v_lshlrev_b32_e32 v1, 1, v78
	;; [unrolled: 1-line block ×9, first 2 shown]
	v_and_or_b32 v33, 0xfc, v0, v92
	v_and_or_b32 v37, 0x7fc, v1, v92
	;; [unrolled: 1-line block ×9, first 2 shown]
	v_lshl_add_u32 v136, v33, 3, v76
	v_lshl_add_u32 v137, v34, 3, v76
	;; [unrolled: 1-line block ×4, first 2 shown]
	ds_read2_b64 v[33:36], v85 offset0:112 offset1:224
	v_and_b32_e32 v130, 3, v160
	v_cmp_gt_u32_e64 s0, 0x60, v160
	s_mov_b32 s4, 0xe8584caa
	s_mov_b32 s5, 0x3febb67a
	;; [unrolled: 1-line block ×3, first 2 shown]
	v_lshlrev_b32_e32 v131, 4, v130
	s_mov_b32 s6, s4
	v_mov_b32_e32 v154, 5
	s_waitcnt vmcnt(0) lgkmcnt(5)
	v_mul_f64 v[92:93], v[15:16], v[11:12]
	s_waitcnt lgkmcnt(4)
	v_mul_f64 v[94:95], v[17:18], v[11:12]
	v_mul_f64 v[100:101], v[19:20], v[11:12]
	s_waitcnt lgkmcnt(3)
	v_mul_f64 v[102:103], v[21:22], v[11:12]
	v_mul_f64 v[114:115], v[40:41], v[11:12]
	;; [unrolled: 1-line block ×7, first 2 shown]
	s_waitcnt lgkmcnt(2)
	v_mul_f64 v[106:107], v[25:26], v[11:12]
	s_waitcnt lgkmcnt(1)
	v_mul_f64 v[110:111], v[29:30], v[11:12]
	v_mul_f64 v[112:113], v[31:32], v[11:12]
	;; [unrolled: 1-line block ×7, first 2 shown]
	v_fma_f64 v[40:41], v[40:41], v[9:10], -v[92:93]
	v_fma_f64 v[92:93], v[46:47], v[9:10], -v[94:95]
	;; [unrolled: 1-line block ×4, first 2 shown]
	v_fma_f64 v[15:16], v[15:16], v[9:10], v[114:115]
	v_fma_f64 v[102:103], v[56:57], v[9:10], -v[104:105]
	v_fma_f64 v[17:18], v[17:18], v[9:10], v[116:117]
	v_fma_f64 v[19:20], v[19:20], v[9:10], v[118:119]
	;; [unrolled: 1-line block ×4, first 2 shown]
	v_fma_f64 v[62:63], v[62:63], v[9:10], -v[106:107]
	v_fma_f64 v[78:79], v[79:80], v[9:10], -v[110:111]
	;; [unrolled: 1-line block ×3, first 2 shown]
	ds_read_b64 v[82:83], v86
	ds_read_b64 v[104:105], v69
	ds_read2_b64 v[46:49], v89 offset0:80 offset1:192
	ds_read2_b64 v[54:57], v72 offset0:48 offset1:160
	v_fma_f64 v[25:26], v[25:26], v[9:10], v[124:125]
	v_fma_f64 v[64:65], v[64:65], v[9:10], -v[108:109]
	v_fma_f64 v[27:28], v[27:28], v[9:10], v[126:127]
	v_fma_f64 v[29:30], v[29:30], v[9:10], v[128:129]
	;; [unrolled: 1-line block ×3, first 2 shown]
	v_lshl_add_u32 v120, v132, 3, v76
	v_lshl_add_u32 v121, v133, 3, v76
	;; [unrolled: 1-line block ×3, first 2 shown]
	v_add_f64 v[11:12], v[66:67], -v[40:41]
	v_add_f64 v[31:32], v[42:43], -v[92:93]
	v_add_f64 v[40:41], v[44:45], -v[94:95]
	v_add_f64 v[92:93], v[50:51], -v[100:101]
	v_lshl_add_u32 v123, v135, 3, v76
	v_add_f64 v[94:95], v[52:53], -v[102:103]
	s_waitcnt lgkmcnt(4)
	v_add_f64 v[102:103], v[33:34], -v[17:18]
	v_add_f64 v[106:107], v[35:36], -v[19:20]
	s_waitcnt lgkmcnt(3)
	v_add_f64 v[100:101], v[82:83], -v[15:16]
	s_waitcnt lgkmcnt(0)
	v_add_f64 v[108:109], v[46:47], -v[21:22]
	v_add_f64 v[110:111], v[48:49], -v[23:24]
	;; [unrolled: 1-line block ×10, first 2 shown]
	s_barrier
	buffer_gl0_inv
	v_fma_f64 v[9:10], v[66:67], 2.0, -v[11:12]
	v_fma_f64 v[15:16], v[42:43], 2.0, -v[31:32]
	;; [unrolled: 1-line block ×4, first 2 shown]
	v_and_or_b32 v124, 0x7f8, v1, v130
	v_fma_f64 v[21:22], v[52:53], 2.0, -v[94:95]
	v_fma_f64 v[44:45], v[33:34], 2.0, -v[102:103]
	;; [unrolled: 1-line block ×4, first 2 shown]
	v_and_or_b32 v126, 0x7f8, v5, v130
	v_fma_f64 v[46:47], v[46:47], 2.0, -v[108:109]
	v_fma_f64 v[48:49], v[48:49], 2.0, -v[110:111]
	;; [unrolled: 1-line block ×10, first 2 shown]
	v_lshl_add_u32 v60, v37, 3, v76
	ds_write2_b64 v136, v[9:10], v[11:12] offset1:2
	ds_write2_b64 v137, v[15:16], v[31:32] offset1:2
	;; [unrolled: 1-line block ×9, first 2 shown]
	s_waitcnt lgkmcnt(0)
	s_barrier
	buffer_gl0_inv
	ds_read2_b64 v[9:12], v70 offset0:16 offset1:240
	ds_read2_b64 v[13:16], v85 offset0:112 offset1:224
	;; [unrolled: 1-line block ×4, first 2 shown]
	ds_read_b64 v[65:66], v86
	ds_read_b64 v[78:79], v69
	ds_read2_b64 v[25:28], v73 offset0:64 offset1:176
	ds_read2_b64 v[29:32], v72 offset0:48 offset1:160
	;; [unrolled: 1-line block ×3, first 2 shown]
	ds_read2_b64 v[37:40], v71 offset1:112
	s_waitcnt lgkmcnt(0)
	s_barrier
	buffer_gl0_inv
	ds_write2_b64 v136, v[42:43], v[100:101] offset1:2
	ds_write2_b64 v137, v[44:45], v[102:103] offset1:2
	ds_write2_b64 v138, v[50:51], v[106:107] offset1:2
	ds_write2_b64 v139, v[46:47], v[108:109] offset1:2
	ds_write2_b64 v120, v[48:49], v[110:111] offset1:2
	ds_write2_b64 v121, v[52:53], v[112:113] offset1:2
	ds_write2_b64 v122, v[54:55], v[114:115] offset1:2
	ds_write2_b64 v123, v[56:57], v[116:117] offset1:2
	ds_write2_b64 v60, v[58:59], v[118:119] offset1:2
	s_waitcnt lgkmcnt(0)
	s_barrier
	buffer_gl0_inv
	global_load_dwordx4 v[41:44], v131, s[8:9] offset:32
	ds_read2_b64 v[45:48], v68 offset0:96 offset1:208
	ds_read2_b64 v[49:52], v70 offset0:16 offset1:240
	;; [unrolled: 1-line block ×4, first 2 shown]
	ds_read2_b64 v[61:64], v71 offset1:112
	v_and_or_b32 v110, 0x3f8, v3, v130
	v_and_or_b32 v111, 0x3f8, v4, v130
	;; [unrolled: 1-line block ×5, first 2 shown]
	v_lshl_add_u32 v132, v110, 3, v76
	v_lshl_add_u32 v133, v111, 3, v76
	v_and_or_b32 v128, 0x7f8, v7, v130
	v_and_or_b32 v129, 0x7f8, v8, v130
	v_lshl_add_u32 v130, v108, 3, v76
	v_lshl_add_u32 v131, v109, 3, v76
	v_and_b32_e32 v67, 7, v160
	v_lshlrev_b32_e32 v125, 4, v67
	s_waitcnt vmcnt(0) lgkmcnt(3)
	v_mul_f64 v[82:83], v[51:52], v[43:44]
	v_mul_f64 v[110:111], v[11:12], v[43:44]
	;; [unrolled: 1-line block ×6, first 2 shown]
	s_waitcnt lgkmcnt(2)
	v_mul_f64 v[92:93], v[53:54], v[43:44]
	v_mul_f64 v[114:115], v[25:26], v[43:44]
	;; [unrolled: 1-line block ×4, first 2 shown]
	s_waitcnt lgkmcnt(1)
	v_mul_f64 v[100:101], v[57:58], v[43:44]
	v_mul_f64 v[102:103], v[59:60], v[43:44]
	s_waitcnt lgkmcnt(0)
	v_mul_f64 v[104:105], v[61:62], v[43:44]
	v_mul_f64 v[118:119], v[33:34], v[43:44]
	;; [unrolled: 1-line block ×6, first 2 shown]
	v_fma_f64 v[11:12], v[11:12], v[41:42], -v[82:83]
	v_fma_f64 v[51:52], v[51:52], v[41:42], v[110:111]
	v_fma_f64 v[80:81], v[17:18], v[41:42], -v[80:81]
	v_fma_f64 v[45:46], v[45:46], v[41:42], v[108:109]
	;; [unrolled: 2-line block ×5, first 2 shown]
	v_fma_f64 v[94:95], v[33:34], v[41:42], -v[100:101]
	v_fma_f64 v[100:101], v[35:36], v[41:42], -v[102:103]
	;; [unrolled: 1-line block ×3, first 2 shown]
	ds_read_b64 v[102:103], v86
	ds_read_b64 v[104:105], v69
	ds_read2_b64 v[17:20], v85 offset0:112 offset1:224
	ds_read2_b64 v[25:28], v89 offset0:80 offset1:192
	ds_read2_b64 v[33:36], v72 offset0:48 offset1:160
	v_fma_f64 v[57:58], v[57:58], v[41:42], v[118:119]
	v_fma_f64 v[59:60], v[59:60], v[41:42], v[120:121]
	;; [unrolled: 1-line block ×3, first 2 shown]
	v_fma_f64 v[39:40], v[39:40], v[41:42], -v[106:107]
	v_fma_f64 v[41:42], v[63:64], v[41:42], v[43:44]
	v_lshl_add_u32 v114, v126, 3, v76
	v_lshl_add_u32 v115, v127, 3, v76
	;; [unrolled: 1-line block ×3, first 2 shown]
	v_add_f64 v[11:12], v[65:66], -v[11:12]
	v_lshl_add_u32 v117, v129, 3, v76
	v_add_f64 v[43:44], v[13:14], -v[80:81]
	v_lshl_add_u32 v118, v124, 3, v76
	v_add_f64 v[63:64], v[15:16], -v[82:83]
	s_waitcnt lgkmcnt(0)
	v_add_f64 v[80:81], v[21:22], -v[90:91]
	v_add_f64 v[51:52], v[102:103], -v[51:52]
	;; [unrolled: 1-line block ×15, first 2 shown]
	s_barrier
	v_fma_f64 v[65:66], v[65:66], 2.0, -v[11:12]
	buffer_gl0_inv
	v_fma_f64 v[13:14], v[13:14], 2.0, -v[43:44]
	v_and_b32_e32 v124, 15, v160
	v_fma_f64 v[15:16], v[15:16], 2.0, -v[63:64]
	v_and_or_b32 v127, 0x7f0, v5, v67
	v_fma_f64 v[21:22], v[21:22], 2.0, -v[80:81]
	v_fma_f64 v[94:95], v[102:103], 2.0, -v[51:52]
	;; [unrolled: 1-line block ×15, first 2 shown]
	ds_write2_b64 v130, v[65:66], v[11:12] offset1:4
	ds_write2_b64 v131, v[13:14], v[43:44] offset1:4
	;; [unrolled: 1-line block ×9, first 2 shown]
	s_waitcnt lgkmcnt(0)
	s_barrier
	buffer_gl0_inv
	ds_read2_b64 v[9:12], v70 offset0:16 offset1:240
	ds_read2_b64 v[13:16], v85 offset0:112 offset1:224
	;; [unrolled: 1-line block ×4, first 2 shown]
	ds_read_b64 v[65:66], v86
	ds_read_b64 v[78:79], v69
	ds_read2_b64 v[25:28], v73 offset0:64 offset1:176
	ds_read2_b64 v[29:32], v72 offset0:48 offset1:160
	;; [unrolled: 1-line block ×3, first 2 shown]
	ds_read2_b64 v[37:40], v71 offset1:112
	s_waitcnt lgkmcnt(0)
	s_barrier
	buffer_gl0_inv
	ds_write2_b64 v130, v[94:95], v[51:52] offset1:4
	ds_write2_b64 v131, v[100:101], v[45:46] offset1:4
	;; [unrolled: 1-line block ×9, first 2 shown]
	s_waitcnt lgkmcnt(0)
	s_barrier
	buffer_gl0_inv
	global_load_dwordx4 v[41:44], v125, s[8:9] offset:96
	ds_read2_b64 v[45:48], v68 offset0:96 offset1:208
	ds_read2_b64 v[49:52], v70 offset0:16 offset1:240
	;; [unrolled: 1-line block ×4, first 2 shown]
	ds_read2_b64 v[61:64], v71 offset1:112
	v_and_or_b32 v110, 0x3f0, v3, v67
	v_and_or_b32 v111, 0x3f0, v4, v67
	;; [unrolled: 1-line block ×5, first 2 shown]
	v_lshl_add_u32 v132, v110, 3, v76
	v_lshl_add_u32 v133, v111, 3, v76
	;; [unrolled: 1-line block ×4, first 2 shown]
	v_lshlrev_b32_e32 v126, 4, v124
	v_and_or_b32 v128, 0x5f0, v6, v67
	v_and_or_b32 v129, 0x7f0, v7, v67
	;; [unrolled: 1-line block ×4, first 2 shown]
	v_lshl_add_u32 v67, v67, 3, v76
	s_waitcnt vmcnt(0) lgkmcnt(3)
	v_mul_f64 v[82:83], v[51:52], v[43:44]
	v_mul_f64 v[110:111], v[11:12], v[43:44]
	;; [unrolled: 1-line block ×6, first 2 shown]
	s_waitcnt lgkmcnt(2)
	v_mul_f64 v[92:93], v[53:54], v[43:44]
	v_mul_f64 v[114:115], v[25:26], v[43:44]
	;; [unrolled: 1-line block ×4, first 2 shown]
	s_waitcnt lgkmcnt(1)
	v_mul_f64 v[100:101], v[57:58], v[43:44]
	v_mul_f64 v[102:103], v[59:60], v[43:44]
	s_waitcnt lgkmcnt(0)
	v_mul_f64 v[104:105], v[61:62], v[43:44]
	v_mul_f64 v[118:119], v[33:34], v[43:44]
	;; [unrolled: 1-line block ×6, first 2 shown]
	v_fma_f64 v[11:12], v[11:12], v[41:42], -v[82:83]
	v_fma_f64 v[51:52], v[51:52], v[41:42], v[110:111]
	v_fma_f64 v[80:81], v[17:18], v[41:42], -v[80:81]
	v_fma_f64 v[45:46], v[45:46], v[41:42], v[108:109]
	;; [unrolled: 2-line block ×5, first 2 shown]
	v_fma_f64 v[94:95], v[33:34], v[41:42], -v[100:101]
	v_fma_f64 v[100:101], v[35:36], v[41:42], -v[102:103]
	;; [unrolled: 1-line block ×3, first 2 shown]
	ds_read_b64 v[102:103], v86
	ds_read_b64 v[104:105], v69
	ds_read2_b64 v[17:20], v85 offset0:112 offset1:224
	ds_read2_b64 v[25:28], v89 offset0:80 offset1:192
	;; [unrolled: 1-line block ×3, first 2 shown]
	v_fma_f64 v[57:58], v[57:58], v[41:42], v[118:119]
	v_fma_f64 v[59:60], v[59:60], v[41:42], v[120:121]
	;; [unrolled: 1-line block ×3, first 2 shown]
	v_fma_f64 v[39:40], v[39:40], v[41:42], -v[106:107]
	v_fma_f64 v[41:42], v[63:64], v[41:42], v[43:44]
	v_lshl_add_u32 v114, v127, 3, v76
	v_lshl_add_u32 v115, v128, 3, v76
	;; [unrolled: 1-line block ×3, first 2 shown]
	v_add_f64 v[11:12], v[65:66], -v[11:12]
	v_lshl_add_u32 v117, v125, 3, v76
	v_add_f64 v[43:44], v[13:14], -v[80:81]
	s_waitcnt lgkmcnt(0)
	v_add_f64 v[63:64], v[15:16], -v[82:83]
	s_barrier
	v_add_f64 v[80:81], v[21:22], -v[90:91]
	v_add_f64 v[51:52], v[102:103], -v[51:52]
	;; [unrolled: 1-line block ×15, first 2 shown]
	buffer_gl0_inv
	v_fma_f64 v[65:66], v[65:66], 2.0, -v[11:12]
	v_and_or_b32 v127, 0x5e0, v6, v124
	v_fma_f64 v[13:14], v[13:14], 2.0, -v[43:44]
	v_and_or_b32 v128, 0x7e0, v7, v124
	v_fma_f64 v[15:16], v[15:16], 2.0, -v[63:64]
	v_fma_f64 v[21:22], v[21:22], 2.0, -v[80:81]
	;; [unrolled: 1-line block ×16, first 2 shown]
	ds_write2_b64 v130, v[65:66], v[11:12] offset1:8
	ds_write2_b64 v131, v[13:14], v[43:44] offset1:8
	;; [unrolled: 1-line block ×9, first 2 shown]
	s_waitcnt lgkmcnt(0)
	s_barrier
	buffer_gl0_inv
	ds_read2_b64 v[9:12], v70 offset0:16 offset1:240
	ds_read2_b64 v[13:16], v85 offset0:112 offset1:224
	;; [unrolled: 1-line block ×4, first 2 shown]
	ds_read_b64 v[65:66], v86
	ds_read_b64 v[81:82], v69
	ds_read2_b64 v[25:28], v73 offset0:64 offset1:176
	ds_read2_b64 v[29:32], v72 offset0:48 offset1:160
	;; [unrolled: 1-line block ×3, first 2 shown]
	ds_read2_b64 v[37:40], v71 offset1:112
	s_waitcnt lgkmcnt(0)
	s_barrier
	buffer_gl0_inv
	ds_write2_b64 v130, v[94:95], v[51:52] offset1:8
	ds_write2_b64 v131, v[100:101], v[45:46] offset1:8
	;; [unrolled: 1-line block ×9, first 2 shown]
	s_waitcnt lgkmcnt(0)
	s_barrier
	buffer_gl0_inv
	global_load_dwordx4 v[41:44], v126, s[8:9] offset:224
	ds_read2_b64 v[45:48], v68 offset0:96 offset1:208
	ds_read2_b64 v[49:52], v70 offset0:16 offset1:240
	ds_read2_b64 v[61:64], v71 offset1:112
	ds_read2_b64 v[53:56], v73 offset0:64 offset1:176
	ds_read2_b64 v[57:60], v87 offset0:32 offset1:144
	v_and_or_b32 v106, 0x3e0, v4, v124
	v_and_or_b32 v104, 0x1e0, v2, v124
	;; [unrolled: 1-line block ×5, first 2 shown]
	v_lshl_add_u32 v132, v106, 3, v76
	v_lshl_add_u32 v130, v104, 3, v76
	;; [unrolled: 1-line block ×3, first 2 shown]
	v_and_or_b32 v126, 0x7e0, v5, v124
	v_lshl_add_u32 v67, v67, 3, v76
	v_and_b32_e32 v79, 31, v77
	v_and_b32_e32 v80, 31, v75
	;; [unrolled: 1-line block ×3, first 2 shown]
	v_lshl_add_u32 v83, v83, 3, v76
	v_lshlrev_b32_e32 v124, 5, v79
	v_lshlrev_b32_e32 v129, 5, v80
	;; [unrolled: 1-line block ×3, first 2 shown]
	s_waitcnt vmcnt(0) lgkmcnt(3)
	v_mul_f64 v[2:3], v[51:52], v[43:44]
	v_mul_f64 v[106:107], v[11:12], v[43:44]
	v_mul_f64 v[0:1], v[45:46], v[43:44]
	s_waitcnt lgkmcnt(2)
	v_mul_f64 v[102:103], v[63:64], v[43:44]
	v_mul_f64 v[104:105], v[17:18], v[43:44]
	v_mul_f64 v[4:5], v[47:48], v[43:44]
	v_mul_f64 v[108:109], v[19:20], v[43:44]
	s_waitcnt lgkmcnt(1)
	v_mul_f64 v[6:7], v[53:54], v[43:44]
	;; [unrolled: 5-line block ×3, first 2 shown]
	v_mul_f64 v[114:115], v[33:34], v[43:44]
	v_mul_f64 v[94:95], v[59:60], v[43:44]
	;; [unrolled: 1-line block ×6, first 2 shown]
	v_fma_f64 v[11:12], v[11:12], v[41:42], -v[2:3]
	v_fma_f64 v[51:52], v[51:52], v[41:42], v[106:107]
	v_fma_f64 v[120:121], v[17:18], v[41:42], -v[0:1]
	v_fma_f64 v[39:40], v[39:40], v[41:42], -v[102:103]
	v_fma_f64 v[45:46], v[45:46], v[41:42], v[104:105]
	v_fma_f64 v[122:123], v[19:20], v[41:42], -v[4:5]
	v_fma_f64 v[47:48], v[47:48], v[41:42], v[108:109]
	;; [unrolled: 2-line block ×4, first 2 shown]
	v_fma_f64 v[33:34], v[33:34], v[41:42], -v[92:93]
	ds_read_b64 v[90:91], v86
	ds_read_b64 v[92:93], v69
	ds_read2_b64 v[0:3], v85 offset0:112 offset1:224
	ds_read2_b64 v[4:7], v89 offset0:80 offset1:192
	;; [unrolled: 1-line block ×3, first 2 shown]
	v_fma_f64 v[57:58], v[57:58], v[41:42], v[114:115]
	v_fma_f64 v[35:36], v[35:36], v[41:42], -v[94:95]
	v_fma_f64 v[59:60], v[59:60], v[41:42], v[116:117]
	v_fma_f64 v[37:38], v[37:38], v[41:42], -v[100:101]
	v_fma_f64 v[61:62], v[61:62], v[41:42], v[118:119]
	v_fma_f64 v[41:42], v[63:64], v[41:42], v[43:44]
	v_lshl_add_u32 v113, v8, 3, v76
	v_lshl_add_u32 v110, v126, 3, v76
	;; [unrolled: 1-line block ×3, first 2 shown]
	v_add_f64 v[11:12], v[65:66], -v[11:12]
	v_lshl_add_u32 v112, v128, 3, v76
	v_add_f64 v[43:44], v[13:14], -v[120:121]
	v_add_f64 v[39:40], v[81:82], -v[39:40]
	s_waitcnt lgkmcnt(0)
	v_add_f64 v[63:64], v[15:16], -v[122:123]
	v_add_f64 v[51:52], v[90:91], -v[51:52]
	v_add_f64 v[25:26], v[21:22], -v[25:26]
	v_add_f64 v[45:46], v[0:1], -v[45:46]
	v_add_f64 v[47:48], v[2:3], -v[47:48]
	v_add_f64 v[53:54], v[4:5], -v[53:54]
	v_add_f64 v[27:28], v[23:24], -v[27:28]
	v_add_f64 v[55:56], v[6:7], -v[55:56]
	v_add_f64 v[33:34], v[29:30], -v[33:34]
	v_add_f64 v[57:58], v[17:18], -v[57:58]
	v_add_f64 v[35:36], v[31:32], -v[35:36]
	v_add_f64 v[94:95], v[19:20], -v[59:60]
	v_add_f64 v[37:38], v[9:10], -v[37:38]
	v_add_f64 v[100:101], v[49:50], -v[61:62]
	v_add_f64 v[41:42], v[92:93], -v[41:42]
	s_barrier
	buffer_gl0_inv
	v_fma_f64 v[59:60], v[65:66], 2.0, -v[11:12]
	v_fma_f64 v[13:14], v[13:14], 2.0, -v[43:44]
	;; [unrolled: 1-line block ×18, first 2 shown]
	ds_write2_b64 v67, v[59:60], v[11:12] offset1:16
	ds_write2_b64 v130, v[13:14], v[43:44] offset1:16
	;; [unrolled: 1-line block ×9, first 2 shown]
	s_waitcnt lgkmcnt(0)
	s_barrier
	buffer_gl0_inv
	ds_read2_b64 v[0:3], v72 offset0:48 offset1:160
	ds_read2_b64 v[28:31], v73 offset0:64 offset1:176
	;; [unrolled: 1-line block ×4, first 2 shown]
	ds_read_b64 v[60:61], v86
	ds_read_b64 v[62:63], v69
	ds_read2_b64 v[20:23], v87 offset0:32 offset1:144
	ds_read2_b64 v[4:7], v89 offset0:80 offset1:192
	;; [unrolled: 1-line block ×3, first 2 shown]
	ds_read2_b64 v[16:19], v71 offset1:112
	s_waitcnt lgkmcnt(0)
	s_barrier
	buffer_gl0_inv
	ds_write2_b64 v67, v[65:66], v[51:52] offset1:16
	ds_write2_b64 v130, v[81:82], v[45:46] offset1:16
	;; [unrolled: 1-line block ×9, first 2 shown]
	v_and_b32_e32 v81, 31, v84
	s_waitcnt lgkmcnt(0)
	s_barrier
	buffer_gl0_inv
	s_clause 0x5
	global_load_dwordx4 v[32:35], v124, s[8:9] offset:480
	global_load_dwordx4 v[40:43], v129, s[8:9] offset:480
	;; [unrolled: 1-line block ×6, first 2 shown]
	v_lshlrev_b32_e32 v66, 5, v81
	s_clause 0x2
	global_load_dwordx2 v[64:65], v124, s[8:9] offset:504
	global_load_dwordx4 v[56:59], v124, s[8:9] offset:488
	global_load_dwordx2 v[66:67], v66, s[8:9] offset:480
	v_add_nc_u32_e32 v90, 0xffffffa0, v160
	v_mov_b32_e32 v91, 0xaaab
	v_and_b32_e32 v101, 0xff, v84
	v_lshrrev_b32_e32 v82, 5, v160
	v_lshrrev_b32_e32 v92, 5, v84
	;; [unrolled: 1-line block ×6, first 2 shown]
	v_cndmask_b32_e64 v155, v90, v160, s0
	v_mul_u32_u24_sdwa v90, v75, v91 dst_sel:DWORD dst_unused:UNUSED_PAD src0_sel:WORD_0 src1_sel:DWORD
	v_mul_u32_u24_sdwa v102, v161, v91 dst_sel:DWORD dst_unused:UNUSED_PAD src0_sel:WORD_0 src1_sel:DWORD
	;; [unrolled: 1-line block ×4, first 2 shown]
	v_mul_lo_u16 v101, 0xab, v101
	v_mul_u32_u24_e32 v82, 0x60, v82
	v_mul_u32_u24_e32 v92, 0x60, v92
	;; [unrolled: 1-line block ×6, first 2 shown]
	v_lshrrev_b32_e32 v156, 22, v90
	v_lshrrev_b32_e32 v157, 22, v102
	;; [unrolled: 1-line block ×4, first 2 shown]
	v_lshrrev_b16 v163, 14, v101
	v_or_b32_e32 v104, v82, v78
	v_or_b32_e32 v81, v92, v81
	;; [unrolled: 1-line block ×6, first 2 shown]
	v_mul_lo_u16 v91, 0x60, v156
	v_mul_lo_u16 v92, 0x60, v157
	;; [unrolled: 1-line block ×5, first 2 shown]
	v_lshl_add_u32 v162, v104, 3, v76
	v_lshl_add_u32 v164, v81, 3, v76
	;; [unrolled: 1-line block ×6, first 2 shown]
	v_sub_nc_u16 v169, v75, v91
	v_sub_nc_u16 v170, v161, v92
	;; [unrolled: 1-line block ×4, first 2 shown]
	ds_read2_b64 v[74:77], v70 offset0:16 offset1:240
	ds_read2_b64 v[78:81], v73 offset0:64 offset1:176
	;; [unrolled: 1-line block ×3, first 2 shown]
	v_sub_nc_u16 v173, v84, v95
	ds_read2_b64 v[100:103], v87 offset0:32 offset1:144
	ds_read_b64 v[94:95], v69
	ds_read2_b64 v[104:107], v71 offset1:112
	ds_read2_b64 v[108:111], v68 offset0:96 offset1:208
	ds_read_b64 v[120:121], v86
	ds_read2_b64 v[112:115], v85 offset0:112 offset1:224
	ds_read2_b64 v[116:119], v89 offset0:80 offset1:192
	v_mov_b32_e32 v83, 0
	v_lshlrev_b32_e32 v82, 1, v155
	v_lshlrev_b32_sdwa v176, v154, v173 dst_sel:DWORD dst_unused:UNUSED_PAD src0_sel:DWORD src1_sel:BYTE_0
	s_waitcnt vmcnt(0) lgkmcnt(0)
	s_barrier
	buffer_gl0_inv
	v_lshlrev_b64 v[82:83], 4, v[82:83]
	v_lshlrev_b32_sdwa v175, v154, v170 dst_sel:DWORD dst_unused:UNUSED_PAD src0_sel:DWORD src1_sel:WORD_0
	v_lshlrev_b32_sdwa v174, v154, v169 dst_sel:DWORD dst_unused:UNUSED_PAD src0_sel:DWORD src1_sel:WORD_0
	v_mad_u32_u24 v156, 0x900, v156, 0
	v_add_co_u32 v82, s0, s8, v82
	v_add_co_ci_u32_e64 v83, s0, s9, v83, s0
	v_cmp_lt_u32_e64 s0, 0x5f, v160
	v_mul_f64 v[122:123], v[74:75], v[34:35]
	v_mul_f64 v[34:35], v[24:25], v[34:35]
	;; [unrolled: 1-line block ×24, first 2 shown]
	v_fma_f64 v[24:25], v[24:25], v[66:67], -v[122:123]
	v_fma_f64 v[34:35], v[74:75], v[66:67], v[34:35]
	v_fma_f64 v[28:29], v[28:29], v[36:37], -v[126:127]
	v_fma_f64 v[2:3], v[2:3], v[44:45], -v[128:129]
	v_fma_f64 v[66:67], v[78:79], v[36:37], v[130:131]
	v_fma_f64 v[74:75], v[92:93], v[44:45], v[132:133]
	v_fma_f64 v[20:21], v[20:21], v[36:37], -v[134:135]
	v_fma_f64 v[30:31], v[30:31], v[58:59], -v[136:137]
	v_fma_f64 v[50:51], v[80:81], v[58:59], v[50:51]
	v_fma_f64 v[58:59], v[62:63], v[44:45], -v[138:139]
	v_fma_f64 v[16:17], v[16:17], v[36:37], -v[146:147]
	;; [unrolled: 1-line block ×5, first 2 shown]
	v_fma_f64 v[62:63], v[100:101], v[36:37], v[142:143]
	v_fma_f64 v[78:79], v[94:95], v[44:45], v[144:145]
	v_fma_f64 v[26:27], v[26:27], v[40:41], -v[124:125]
	v_fma_f64 v[40:41], v[76:77], v[40:41], v[42:43]
	v_fma_f64 v[22:23], v[22:23], v[52:53], -v[140:141]
	v_fma_f64 v[42:43], v[102:103], v[52:53], v[54:55]
	v_fma_f64 v[36:37], v[104:105], v[36:37], v[38:39]
	;; [unrolled: 1-line block ×5, first 2 shown]
	v_add_f64 v[54:55], v[8:9], v[24:25]
	v_add_f64 v[46:47], v[2:3], v[28:29]
	;; [unrolled: 1-line block ×3, first 2 shown]
	v_add_f64 v[52:53], v[74:75], -v[66:67]
	v_add_f64 v[136:137], v[120:121], v[74:75]
	v_add_f64 v[74:75], v[74:75], v[66:67]
	;; [unrolled: 1-line block ×5, first 2 shown]
	v_add_f64 v[64:65], v[34:35], -v[50:51]
	v_add_f64 v[108:109], v[12:13], v[16:17]
	v_add_f64 v[128:129], v[14:15], v[18:19]
	;; [unrolled: 1-line block ×8, first 2 shown]
	v_add_f64 v[78:79], v[78:79], -v[62:63]
	v_add_f64 v[124:125], v[44:45], v[36:37]
	v_add_f64 v[106:107], v[40:41], -v[42:43]
	v_add_f64 v[132:133], v[32:33], v[38:39]
	;; [unrolled: 2-line block ×3, first 2 shown]
	v_add_f64 v[40:41], v[116:117], v[40:41]
	v_add_f64 v[126:127], v[118:119], v[44:45]
	;; [unrolled: 1-line block ×4, first 2 shown]
	v_add_f64 v[44:45], v[44:45], -v[36:37]
	v_add_f64 v[32:33], v[32:33], -v[38:39]
	v_fma_f64 v[46:47], v[46:47], -0.5, v[60:61]
	v_fma_f64 v[10:11], v[76:77], -0.5, v[10:11]
	;; [unrolled: 1-line block ×5, first 2 shown]
	v_add_f64 v[24:25], v[24:25], -v[30:31]
	v_add_f64 v[28:29], v[48:49], v[28:29]
	v_fma_f64 v[8:9], v[56:57], -0.5, v[8:9]
	v_fma_f64 v[48:49], v[92:93], -0.5, v[112:113]
	v_add_f64 v[58:59], v[58:59], -v[20:21]
	v_add_f64 v[30:31], v[54:55], v[30:31]
	v_fma_f64 v[54:55], v[94:95], -0.5, v[114:115]
	v_add_f64 v[102:103], v[4:5], v[26:27]
	v_add_f64 v[26:27], v[26:27], -v[22:23]
	v_fma_f64 v[4:5], v[104:105], -0.5, v[4:5]
	v_fma_f64 v[56:57], v[122:123], -0.5, v[116:117]
	v_add_f64 v[12:13], v[12:13], -v[16:17]
	v_fma_f64 v[60:61], v[124:125], -0.5, v[118:119]
	v_add_f64 v[14:15], v[14:15], -v[18:19]
	v_fma_f64 v[76:77], v[132:133], -0.5, v[90:91]
	v_add_f64 v[66:67], v[136:137], v[66:67]
	v_add_f64 v[34:35], v[34:35], v[50:51]
	;; [unrolled: 1-line block ×4, first 2 shown]
	v_fma_f64 v[42:43], v[52:53], s[4:5], v[46:47]
	v_fma_f64 v[62:63], v[78:79], s[4:5], v[10:11]
	;; [unrolled: 1-line block ×10, first 2 shown]
	v_add_f64 v[20:21], v[80:81], v[20:21]
	v_fma_f64 v[52:53], v[64:65], s[4:5], v[8:9]
	v_fma_f64 v[80:81], v[24:25], s[6:7], v[48:49]
	v_fma_f64 v[8:9], v[64:65], s[6:7], v[8:9]
	v_fma_f64 v[24:25], v[24:25], s[4:5], v[48:49]
	v_fma_f64 v[48:49], v[58:59], s[6:7], v[54:55]
	v_fma_f64 v[54:55], v[58:59], s[4:5], v[54:55]
	v_add_f64 v[22:23], v[102:103], v[22:23]
	v_fma_f64 v[64:65], v[106:107], s[4:5], v[4:5]
	v_fma_f64 v[58:59], v[26:27], s[6:7], v[56:57]
	;; [unrolled: 1-line block ×4, first 2 shown]
	v_add_f64 v[16:17], v[110:111], v[16:17]
	v_add_f64 v[36:37], v[126:127], v[36:37]
	v_fma_f64 v[56:57], v[12:13], s[6:7], v[60:61]
	v_fma_f64 v[90:91], v[12:13], s[4:5], v[60:61]
	v_add_f64 v[18:19], v[130:131], v[18:19]
	v_add_f64 v[38:39], v[134:135], v[38:39]
	v_fma_f64 v[92:93], v[14:15], s[6:7], v[76:77]
	v_fma_f64 v[76:77], v[14:15], s[4:5], v[76:77]
	ds_write2_b64 v162, v[28:29], v[42:43] offset1:32
	ds_write_b64 v162, v[46:47] offset:512
	ds_write2_b64 v164, v[30:31], v[52:53] offset1:32
	ds_write_b64 v164, v[8:9] offset:512
	;; [unrolled: 2-line block ×6, first 2 shown]
	s_waitcnt lgkmcnt(0)
	s_barrier
	buffer_gl0_inv
	ds_read2_b64 v[0:3], v72 offset0:48 offset1:160
	ds_read2_b64 v[4:7], v73 offset0:64 offset1:176
	ds_read_b64 v[152:153], v86
	ds_read_b64 v[42:43], v69
	ds_read2_b64 v[8:11], v85 offset0:112 offset1:224
	ds_read2_b64 v[12:15], v70 offset0:16 offset1:240
	;; [unrolled: 1-line block ×5, first 2 shown]
	ds_read2_b64 v[60:63], v71 offset1:112
	s_waitcnt lgkmcnt(0)
	s_barrier
	buffer_gl0_inv
	ds_write2_b64 v162, v[66:67], v[32:33] offset1:32
	ds_write_b64 v162, v[74:75] offset:512
	ds_write2_b64 v164, v[34:35], v[80:81] offset1:32
	ds_write_b64 v164, v[24:25] offset:512
	;; [unrolled: 2-line block ×6, first 2 shown]
	s_waitcnt lgkmcnt(0)
	s_barrier
	buffer_gl0_inv
	s_clause 0x2
	global_load_dwordx4 v[64:67], v[82:83], off offset:1520
	global_load_dwordx4 v[76:79], v176, s[8:9] offset:1520
	global_load_dwordx4 v[80:83], v[82:83], off offset:1504
	v_lshlrev_b32_sdwa v24, v154, v171 dst_sel:DWORD dst_unused:UNUSED_PAD src0_sel:DWORD src1_sel:WORD_0
	v_lshlrev_b32_sdwa v25, v154, v172 dst_sel:DWORD dst_unused:UNUSED_PAD src0_sel:DWORD src1_sel:WORD_0
	s_clause 0x8
	global_load_dwordx4 v[100:103], v176, s[8:9] offset:1504
	global_load_dwordx4 v[104:107], v175, s[8:9] offset:1520
	;; [unrolled: 1-line block ×9, first 2 shown]
	ds_read2_b64 v[136:139], v73 offset0:64 offset1:176
	ds_read2_b64 v[24:27], v72 offset0:48 offset1:160
	;; [unrolled: 1-line block ×4, first 2 shown]
	ds_read_b64 v[32:33], v69
	ds_read2_b64 v[148:151], v68 offset0:96 offset1:208
	ds_read2_b64 v[68:71], v71 offset1:112
	v_cndmask_b32_e64 v34, 0, 0x900, s0
	v_mov_b32_e32 v154, 3
	v_lshlrev_b32_e32 v35, 3, v155
	v_mad_u32_u24 v155, 0x900, v157, 0
	v_mad_u32_u24 v157, 0x900, v158, 0
	v_add_nc_u32_e32 v34, 0, v34
	v_mad_u32_u24 v158, 0x900, v159, 0
	v_add_nc_u32_e32 v95, 0x2600, v85
	v_cmp_gt_u32_e64 s0, 64, v160
	v_add3_u32 v90, v34, v35, v88
	ds_read_b64 v[34:35], v86
	s_waitcnt vmcnt(8) lgkmcnt(5)
	v_mul_f64 v[44:45], v[140:141], v[102:103]
	s_waitcnt vmcnt(7) lgkmcnt(4)
	v_mul_f64 v[46:47], v[144:145], v[106:107]
	;; [unrolled: 2-line block ×3, first 2 shown]
	s_waitcnt vmcnt(5)
	v_mul_f64 v[52:53], v[142:143], v[114:115]
	v_mul_f64 v[36:37], v[136:137], v[66:67]
	;; [unrolled: 1-line block ×4, first 2 shown]
	s_waitcnt vmcnt(4)
	v_mul_f64 v[54:55], v[146:147], v[118:119]
	v_mul_f64 v[72:73], v[6:7], v[78:79]
	s_waitcnt vmcnt(3) lgkmcnt(2)
	v_mul_f64 v[74:75], v[148:149], v[122:123]
	s_waitcnt vmcnt(2) lgkmcnt(1)
	v_mul_f64 v[78:79], v[68:69], v[126:127]
	s_waitcnt vmcnt(1)
	v_mul_f64 v[91:92], v[150:151], v[130:131]
	s_waitcnt vmcnt(0)
	v_mul_f64 v[93:94], v[70:71], v[134:135]
	v_mul_f64 v[66:67], v[4:5], v[66:67]
	;; [unrolled: 1-line block ×10, first 2 shown]
	v_fma_f64 v[48:49], v[12:13], v[100:101], -v[44:45]
	v_mul_f64 v[130:131], v[30:31], v[130:131]
	v_fma_f64 v[50:51], v[42:43], v[108:109], -v[50:51]
	v_fma_f64 v[42:43], v[14:15], v[112:113], -v[52:53]
	v_fma_f64 v[56:57], v[4:5], v[64:65], -v[36:37]
	v_fma_f64 v[58:59], v[2:3], v[80:81], -v[40:41]
	v_fma_f64 v[38:39], v[6:7], v[76:77], -v[38:39]
	v_fma_f64 v[40:41], v[16:17], v[104:105], -v[46:47]
	v_fma_f64 v[52:53], v[18:19], v[116:117], -v[54:55]
	v_fma_f64 v[44:45], v[28:29], v[120:121], -v[74:75]
	v_fma_f64 v[54:55], v[60:61], v[124:125], -v[78:79]
	v_mul_f64 v[134:135], v[62:63], v[134:135]
	v_fma_f64 v[36:37], v[30:31], v[128:129], -v[91:92]
	v_fma_f64 v[46:47], v[62:63], v[132:133], -v[93:94]
	v_fma_f64 v[60:61], v[136:137], v[64:65], v[66:67]
	v_fma_f64 v[74:75], v[26:27], v[80:81], v[82:83]
	;; [unrolled: 1-line block ×11, first 2 shown]
	v_and_b32_e32 v18, 0xffff, v163
	v_add_f64 v[28:29], v[8:9], v[48:49]
	v_add_f64 v[2:3], v[58:59], v[56:57]
	;; [unrolled: 1-line block ×5, first 2 shown]
	v_mad_u32_u24 v120, 0x900, v18, 0
	v_add_f64 v[14:15], v[44:45], v[54:55]
	v_fma_f64 v[70:71], v[70:71], v[132:133], v[134:135]
	v_add_f64 v[18:19], v[152:153], v[58:59]
	v_add_f64 v[16:17], v[36:37], v[46:47]
	v_add_f64 v[30:31], v[10:11], v[50:51]
	v_add_f64 v[26:27], v[74:75], -v[60:61]
	v_add_f64 v[32:33], v[20:21], v[42:43]
	v_add_f64 v[104:105], v[76:77], -v[62:63]
	v_add_f64 v[100:101], v[22:23], v[44:45]
	v_add_f64 v[102:103], v[0:1], v[36:37]
	v_lshlrev_b32_sdwa v121, v154, v170 dst_sel:DWORD dst_unused:UNUSED_PAD src0_sel:DWORD src1_sel:WORD_0
	v_lshlrev_b32_sdwa v122, v154, v169 dst_sel:DWORD dst_unused:UNUSED_PAD src0_sel:DWORD src1_sel:WORD_0
	;; [unrolled: 1-line block ×4, first 2 shown]
	v_lshlrev_b32_sdwa v127, v154, v173 dst_sel:DWORD dst_unused:UNUSED_PAD src0_sel:DWORD src1_sel:BYTE_0
	v_add_nc_u32_e32 v91, 0x200, v85
	v_add3_u32 v125, v155, v121, v88
	v_fma_f64 v[2:3], v[2:3], -0.5, v[152:153]
	v_fma_f64 v[4:5], v[4:5], -0.5, v[8:9]
	v_add_f64 v[8:9], v[82:83], -v[64:65]
	v_fma_f64 v[6:7], v[6:7], -0.5, v[10:11]
	v_add_f64 v[10:11], v[72:73], -v[66:67]
	;; [unrolled: 2-line block ×4, first 2 shown]
	v_fma_f64 v[0:1], v[16:17], -0.5, v[0:1]
	v_add_f64 v[16:17], v[18:19], v[56:57]
	v_add_f64 v[18:19], v[28:29], v[38:39]
	;; [unrolled: 1-line block ×6, first 2 shown]
	v_add3_u32 v124, v156, v122, v88
	v_add3_u32 v123, v157, v123, v88
	;; [unrolled: 1-line block ×4, first 2 shown]
	v_add_nc_u32_e32 v92, 0xc00, v85
	v_add_nc_u32_e32 v93, 0x1400, v85
	v_fma_f64 v[114:115], v[26:27], s[4:5], v[2:3]
	v_fma_f64 v[2:3], v[26:27], s[6:7], v[2:3]
	;; [unrolled: 1-line block ×12, first 2 shown]
	v_add_nc_u32_e32 v94, 0x1e00, v85
	ds_read2_b64 v[26:29], v89 offset0:80 offset1:192
	ds_read2_b64 v[30:33], v85 offset0:112 offset1:224
	s_waitcnt lgkmcnt(0)
	s_barrier
	buffer_gl0_inv
	ds_write2_b64 v90, v[16:17], v[114:115] offset1:96
	ds_write_b64 v90, v[2:3] offset:1536
	ds_write2_b64 v88, v[18:19], v[116:117] offset1:96
	ds_write_b64 v88, v[4:5] offset:1536
	;; [unrolled: 2-line block ×6, first 2 shown]
	s_waitcnt lgkmcnt(0)
	s_barrier
	buffer_gl0_inv
	ds_read_b64 v[128:129], v86
	ds_read_b64 v[130:131], v85 offset:14720
	ds_read2_b64 v[0:3], v91 offset0:48 offset1:224
	ds_read2_b64 v[4:7], v92 offset0:16 offset1:192
	;; [unrolled: 1-line block ×6, first 2 shown]
                                        ; implicit-def: $vgpr114_vgpr115
                                        ; implicit-def: $vgpr112_vgpr113
                                        ; implicit-def: $vgpr110_vgpr111
	s_and_saveexec_b32 s1, s0
	s_cbranch_execz .LBB0_15
; %bb.14:
	ds_read_b64 v[100:101], v85 offset:1792
	ds_read_b64 v[102:103], v85 offset:4096
	;; [unrolled: 1-line block ×7, first 2 shown]
.LBB0_15:
	s_or_b32 exec_lo, exec_lo, s1
	v_add_f64 v[108:109], v[74:75], v[60:61]
	v_add_f64 v[116:117], v[76:77], v[62:63]
	;; [unrolled: 1-line block ×7, first 2 shown]
	v_add_f64 v[56:57], v[58:59], -v[56:57]
	v_add_f64 v[58:59], v[30:31], v[76:77]
	v_add_f64 v[38:39], v[48:49], -v[38:39]
	v_add_f64 v[76:77], v[32:33], v[82:83]
	;; [unrolled: 2-line block ×5, first 2 shown]
	v_add_f64 v[36:37], v[36:37], -v[46:47]
	s_waitcnt lgkmcnt(0)
	s_barrier
	buffer_gl0_inv
	v_fma_f64 v[34:35], v[108:109], -0.5, v[34:35]
	v_fma_f64 v[30:31], v[116:117], -0.5, v[30:31]
	;; [unrolled: 1-line block ×6, first 2 shown]
	v_add_f64 v[46:47], v[74:75], v[60:61]
                                        ; implicit-def: $vgpr126_vgpr127
	v_add_f64 v[48:49], v[58:59], v[62:63]
	v_add_f64 v[50:51], v[76:77], v[64:65]
	;; [unrolled: 1-line block ×5, first 2 shown]
	v_fma_f64 v[58:59], v[56:57], s[6:7], v[34:35]
	v_fma_f64 v[34:35], v[56:57], s[4:5], v[34:35]
	;; [unrolled: 1-line block ×12, first 2 shown]
	ds_write2_b64 v90, v[46:47], v[58:59] offset1:96
	ds_write_b64 v90, v[34:35] offset:1536
	ds_write2_b64 v88, v[48:49], v[56:57] offset1:96
	ds_write_b64 v88, v[30:31] offset:1536
	;; [unrolled: 2-line block ×6, first 2 shown]
	s_waitcnt lgkmcnt(0)
	s_barrier
	buffer_gl0_inv
	ds_read2_b64 v[24:27], v91 offset0:48 offset1:224
	ds_read2_b64 v[36:39], v92 offset0:16 offset1:192
	;; [unrolled: 1-line block ×6, first 2 shown]
	ds_read_b64 v[132:133], v86
	ds_read_b64 v[134:135], v85 offset:14720
                                        ; implicit-def: $vgpr124_vgpr125
                                        ; implicit-def: $vgpr122_vgpr123
	s_and_saveexec_b32 s1, s0
	s_cbranch_execz .LBB0_17
; %bb.16:
	ds_read_b64 v[108:109], v85 offset:1792
	ds_read_b64 v[116:117], v85 offset:4096
	;; [unrolled: 1-line block ×7, first 2 shown]
.LBB0_17:
	s_or_b32 exec_lo, exec_lo, s1
	s_and_saveexec_b32 s1, vcc_lo
	s_cbranch_execz .LBB0_20
; %bb.18:
	v_mul_u32_u24_e32 v48, 6, v84
	v_mul_u32_u24_e32 v49, 6, v160
	v_mul_lo_u32 v140, s3, v98
	v_mul_lo_u32 v99, s2, v99
	v_mad_u64_u32 v[136:137], null, s2, v98, 0
	v_lshlrev_b32_e32 v48, 4, v48
	v_lshlrev_b32_e32 v49, 4, v49
	v_mul_hi_u32 v141, 0x38e38e39, v160
	v_add_nc_u32_e32 v142, 0x70, v160
	v_lshlrev_b64 v[138:139], 4, v[96:97]
	v_add_co_u32 v50, s1, s8, v48
	v_add_co_ci_u32_e64 v51, null, s9, 0, s1
	v_add_co_u32 v60, s1, s8, v49
	v_add_co_ci_u32_e64 v61, null, s9, 0, s1
	v_add_co_u32 v56, vcc_lo, 0x1000, v50
	v_add_co_ci_u32_e32 v57, vcc_lo, 0, v51, vcc_lo
	v_add_co_u32 v48, vcc_lo, 0x1220, v60
	v_add_co_ci_u32_e32 v49, vcc_lo, 0, v61, vcc_lo
	;; [unrolled: 2-line block ×6, first 2 shown]
	s_clause 0xb
	global_load_dwordx4 v[48:51], v[48:49], off offset:16
	global_load_dwordx4 v[76:79], v[56:57], off offset:544
	;; [unrolled: 1-line block ×12, first 2 shown]
	v_add3_u32 v137, v137, v99, v140
	v_lshrrev_b32_e32 v141, 6, v141
	v_mul_hi_u32 v97, 0x38e38e39, v142
	v_mov_b32_e32 v98, 0
	s_mov_b32 s22, 0xe976ee23
	v_lshlrev_b64 v[136:137], 4, v[136:137]
	v_mul_u32_u24_e32 v99, 0x120, v141
	s_mov_b32 s24, 0x37e14327
	v_mov_b32_e32 v151, v98
	v_mov_b32_e32 v153, v98
	v_lshrrev_b32_e32 v97, 6, v97
	v_sub_nc_u32_e32 v99, v160, v99
	v_add_co_u32 v136, s1, s14, v136
	v_add_co_ci_u32_e64 v137, s1, s15, v137, s1
	v_lshlrev_b32_e32 v141, 4, v99
	v_add_co_u32 v99, s1, v136, v138
	v_add_co_ci_u32_e64 v162, s1, v137, v139, s1
	v_mul_u32_u24_e32 v140, 0x120, v97
	v_add_co_u32 v136, s1, v99, v141
	v_add_co_ci_u32_e64 v137, s1, 0, v162, s1
	v_sub_nc_u32_e32 v140, v142, v140
	v_add_co_u32 v138, s1, 0x1000, v136
	v_add_co_ci_u32_e64 v139, s1, 0, v137, s1
	v_mad_u32_u24 v97, 0x7e0, v97, v140
	v_add_co_u32 v140, s1, 0x2000, v136
	v_add_co_ci_u32_e64 v141, s1, 0, v137, s1
	v_add_co_u32 v142, s1, 0x3000, v136
	v_add_co_ci_u32_e64 v143, s1, 0, v137, s1
	v_add_co_u32 v144, s1, 0x4800, v136
	v_add_nc_u32_e32 v150, 0x120, v97
	v_add_co_ci_u32_e64 v145, s1, 0, v137, s1
	v_lshlrev_b64 v[163:164], 4, v[97:98]
	v_add_co_u32 v146, s1, 0x5800, v136
	v_add_nc_u32_e32 v152, 0x240, v97
	v_add_co_ci_u32_e64 v147, s1, 0, v137, s1
	v_add_co_u32 v148, s1, 0x6800, v136
	v_lshlrev_b64 v[165:166], 4, v[150:151]
	v_mov_b32_e32 v159, v98
	v_add_nc_u32_e32 v158, 0x5a0, v97
	v_add_co_ci_u32_e64 v149, s1, 0, v137, s1
	v_lshlrev_b64 v[167:168], 4, v[152:153]
	v_add_co_u32 v152, s1, v99, v163
	v_add_co_ci_u32_e64 v153, s1, v162, v164, s1
	v_lshlrev_b64 v[150:151], 4, v[158:159]
	v_add_co_u32 v158, s1, v99, v165
	v_add_co_ci_u32_e64 v159, s1, v162, v166, s1
	v_add_co_u32 v163, s1, v99, v167
	v_add_co_ci_u32_e64 v164, s1, v162, v168, s1
	s_mov_b32 s20, 0x36b3c0b5
	s_mov_b32 s18, 0x429ad128
	;; [unrolled: 1-line block ×18, first 2 shown]
	v_mov_b32_e32 v155, v98
	v_add_nc_u32_e32 v154, 0x360, v97
	v_mov_b32_e32 v157, v98
	v_add_nc_u32_e32 v156, 0x480, v97
	v_add_nc_u32_e32 v97, 0x6c0, v97
	;; [unrolled: 1-line block ×3, first 2 shown]
	v_lshlrev_b64 v[169:170], 4, v[154:155]
	v_lshlrev_b64 v[154:155], 4, v[156:157]
	;; [unrolled: 1-line block ×3, first 2 shown]
	v_cmp_gt_u32_e32 vcc_lo, 0x120, v96
	s_waitcnt vmcnt(11) lgkmcnt(2)
	v_mul_f64 v[167:168], v[46:47], v[50:51]
	s_waitcnt vmcnt(10)
	v_mul_f64 v[165:166], v[44:45], v[78:79]
	v_mul_f64 v[78:79], v[20:21], v[78:79]
	;; [unrolled: 1-line block ×3, first 2 shown]
	s_waitcnt vmcnt(9) lgkmcnt(0)
	v_mul_f64 v[171:172], v[134:135], v[70:71]
	v_mul_f64 v[70:71], v[130:131], v[70:71]
	s_waitcnt vmcnt(6)
	v_mul_f64 v[173:174], v[36:37], v[86:87]
	v_mul_f64 v[86:87], v[4:5], v[86:87]
	;; [unrolled: 1-line block ×3, first 2 shown]
	s_waitcnt vmcnt(5)
	v_mul_f64 v[177:178], v[40:41], v[74:75]
	v_mul_f64 v[179:180], v[28:29], v[54:55]
	v_mul_f64 v[54:55], v[16:17], v[54:55]
	v_mul_f64 v[66:67], v[12:13], v[66:67]
	v_mul_f64 v[74:75], v[8:9], v[74:75]
	s_waitcnt vmcnt(2)
	v_mul_f64 v[185:186], v[10:11], v[82:83]
	s_waitcnt vmcnt(1)
	v_mul_f64 v[187:188], v[26:27], v[94:95]
	v_mul_f64 v[94:95], v[2:3], v[94:95]
	s_waitcnt vmcnt(0)
	v_mul_f64 v[189:190], v[6:7], v[90:91]
	v_mul_f64 v[90:91], v[38:39], v[90:91]
	;; [unrolled: 1-line block ×7, first 2 shown]
	v_fma_f64 v[20:21], v[20:21], v[76:77], -v[165:166]
	v_fma_f64 v[44:45], v[44:45], v[76:77], v[78:79]
	v_fma_f64 v[76:77], v[130:131], v[68:69], -v[171:172]
	v_fma_f64 v[68:69], v[134:135], v[68:69], v[70:71]
	v_fma_f64 v[4:5], v[4:5], v[84:85], -v[173:174]
	v_fma_f64 v[36:37], v[36:37], v[84:85], v[86:87]
	v_fma_f64 v[12:13], v[12:13], v[64:65], -v[175:176]
	v_fma_f64 v[8:9], v[8:9], v[72:73], -v[177:178]
	;; [unrolled: 1-line block ×3, first 2 shown]
	v_fma_f64 v[28:29], v[28:29], v[52:53], v[54:55]
	v_fma_f64 v[32:33], v[32:33], v[64:65], v[66:67]
	;; [unrolled: 1-line block ×3, first 2 shown]
	v_fma_f64 v[22:23], v[22:23], v[48:49], -v[167:168]
	v_fma_f64 v[46:47], v[46:47], v[48:49], v[50:51]
	v_fma_f64 v[42:43], v[42:43], v[80:81], v[185:186]
	;; [unrolled: 1-line block ×4, first 2 shown]
	v_fma_f64 v[2:3], v[2:3], v[92:93], -v[187:188]
	v_fma_f64 v[6:7], v[6:7], v[88:89], -v[90:91]
	;; [unrolled: 1-line block ×5, first 2 shown]
	v_fma_f64 v[30:31], v[30:31], v[60:61], v[62:63]
	v_fma_f64 v[34:35], v[34:35], v[56:57], v[58:59]
	v_add_co_u32 v56, s1, v99, v169
	v_add_f64 v[48:49], v[4:5], -v[76:77]
	v_add_f64 v[54:55], v[36:37], v[68:69]
	v_add_f64 v[4:5], v[4:5], v[76:77]
	v_add_f64 v[50:51], v[8:9], -v[12:13]
	v_add_f64 v[52:53], v[16:17], -v[20:21]
	v_add_f64 v[58:59], v[28:29], v[44:45]
	v_add_f64 v[16:17], v[16:17], v[20:21]
	;; [unrolled: 1-line block ×4, first 2 shown]
	v_add_f64 v[12:13], v[36:37], -v[68:69]
	v_add_f64 v[32:33], v[40:41], -v[32:33]
	v_add_f64 v[20:21], v[26:27], v[46:47]
	v_add_f64 v[36:37], v[38:39], v[42:43]
	v_add_f64 v[40:41], v[2:3], -v[22:23]
	v_add_f64 v[2:3], v[2:3], v[22:23]
	v_add_f64 v[22:23], v[6:7], v[10:11]
	v_add_f64 v[28:29], v[28:29], -v[44:45]
	v_add_f64 v[44:45], v[14:15], -v[18:19]
	;; [unrolled: 1-line block ×3, first 2 shown]
	v_add_f64 v[10:11], v[34:35], v[30:31]
	v_add_f64 v[14:15], v[14:15], v[18:19]
	v_add_f64 v[18:19], v[26:27], -v[46:47]
	v_add_f64 v[26:27], v[34:35], -v[30:31]
	;; [unrolled: 1-line block ×3, first 2 shown]
	v_add_co_ci_u32_e64 v57, s1, v162, v170, s1
	v_add_f64 v[34:35], v[48:49], -v[50:51]
	v_add_f64 v[38:39], v[50:51], -v[52:53]
	v_add_f64 v[42:43], v[50:51], v[52:53]
	v_add_f64 v[46:47], v[54:55], v[58:59]
	v_add_f64 v[50:51], v[54:55], -v[60:61]
	v_add_f64 v[62:63], v[60:61], -v[58:59]
	;; [unrolled: 1-line block ×3, first 2 shown]
	v_add_f64 v[64:65], v[4:5], v[16:17]
	v_add_f64 v[70:71], v[20:21], v[36:37]
	v_add_f64 v[66:67], v[4:5], -v[8:9]
	v_add_f64 v[68:69], v[8:9], -v[16:17]
	v_add_f64 v[58:59], v[2:3], v[22:23]
	v_add_f64 v[52:53], v[52:53], -v[48:49]
	v_add_f64 v[16:17], v[16:17], -v[4:5]
	;; [unrolled: 1-line block ×4, first 2 shown]
	v_add_f64 v[44:45], v[44:45], v[6:7]
	v_add_f64 v[78:79], v[20:21], -v[10:11]
	v_add_f64 v[80:81], v[10:11], -v[36:37]
	v_add_f64 v[82:83], v[2:3], -v[14:15]
	v_add_f64 v[84:85], v[14:15], -v[22:23]
	v_add_f64 v[88:89], v[6:7], -v[40:41]
	v_add_f64 v[6:7], v[26:27], -v[30:31]
	v_add_f64 v[72:73], v[12:13], -v[32:33]
	v_add_f64 v[74:75], v[32:33], -v[28:29]
	v_add_f64 v[46:47], v[60:61], v[46:47]
	v_add_f64 v[32:33], v[32:33], v[28:29]
	v_add_f64 v[28:29], v[28:29], -v[12:13]
	v_add_f64 v[86:87], v[18:19], -v[26:27]
	v_add_f64 v[26:27], v[26:27], v[30:31]
	v_add_f64 v[10:11], v[10:11], v[70:71]
	v_add_f64 v[30:31], v[30:31], -v[18:19]
	v_add_f64 v[8:9], v[8:9], v[64:65]
	v_add_f64 v[14:15], v[14:15], v[58:59]
	v_add_f64 v[20:21], v[36:37], -v[20:21]
	v_add_f64 v[22:23], v[22:23], -v[2:3]
	v_mul_f64 v[36:37], v[38:39], s[22:23]
	v_add_f64 v[38:39], v[48:49], v[42:43]
	v_mul_f64 v[42:43], v[50:51], s[24:25]
	v_mul_f64 v[48:49], v[62:63], s[20:21]
	;; [unrolled: 1-line block ×6, first 2 shown]
	v_add_f64 v[40:41], v[40:41], v[44:45]
	v_mul_f64 v[44:45], v[88:89], s[18:19]
	v_mul_f64 v[70:71], v[80:81], s[20:21]
	v_add_f64 v[2:3], v[24:25], v[46:47]
	v_mul_f64 v[24:25], v[84:85], s[20:21]
	v_mul_f64 v[80:81], v[6:7], s[22:23]
	;; [unrolled: 1-line block ×3, first 2 shown]
	v_add_f64 v[12:13], v[12:13], v[32:33]
	v_add_f64 v[6:7], v[132:133], v[10:11]
	v_mul_f64 v[32:33], v[28:29], s[18:19]
	v_mul_f64 v[74:75], v[78:79], s[24:25]
	v_add_f64 v[4:5], v[128:129], v[14:15]
	v_mul_f64 v[84:85], v[30:31], s[18:19]
	v_mul_f64 v[90:91], v[82:83], s[24:25]
	v_add_f64 v[0:1], v[0:1], v[8:9]
	v_add_f64 v[18:19], v[18:19], v[26:27]
	v_fma_f64 v[26:27], v[34:35], s[12:13], v[36:37]
	v_fma_f64 v[50:51], v[50:51], s[24:25], v[48:49]
	v_fma_f64 v[42:43], v[54:55], s[10:11], -v[42:43]
	v_fma_f64 v[34:35], v[34:35], s[16:17], -v[62:63]
	;; [unrolled: 1-line block ×5, first 2 shown]
	v_fma_f64 v[52:53], v[76:77], s[12:13], v[68:69]
	v_fma_f64 v[44:45], v[76:77], s[16:17], -v[44:45]
	v_fma_f64 v[54:55], v[88:89], s[18:19], -v[68:69]
	v_fma_f64 v[46:47], v[46:47], s[4:5], v[2:3]
	v_fma_f64 v[64:65], v[78:79], s[24:25], v[70:71]
	;; [unrolled: 1-line block ×5, first 2 shown]
	v_fma_f64 v[32:33], v[72:73], s[16:17], -v[32:33]
	v_fma_f64 v[74:75], v[20:21], s[10:11], -v[74:75]
	v_fma_f64 v[14:15], v[14:15], s[4:5], v[4:5]
	v_fma_f64 v[78:79], v[86:87], s[16:17], -v[84:85]
	v_fma_f64 v[20:21], v[20:21], s[6:7], -v[70:71]
	;; [unrolled: 1-line block ×5, first 2 shown]
	v_fma_f64 v[66:67], v[66:67], s[24:25], v[58:59]
	v_fma_f64 v[92:93], v[72:73], s[12:13], v[60:61]
	;; [unrolled: 1-line block ×3, first 2 shown]
	v_fma_f64 v[16:17], v[16:17], s[6:7], -v[58:59]
	v_fma_f64 v[24:25], v[28:29], s[18:19], -v[60:61]
	v_fma_f64 v[58:59], v[38:39], s[2:3], v[26:27]
	v_fma_f64 v[26:27], v[38:39], s[2:3], v[34:35]
	;; [unrolled: 1-line block ×6, first 2 shown]
	v_add_f64 v[38:39], v[48:49], v[46:47]
	v_fma_f64 v[54:55], v[18:19], s[2:3], v[76:77]
	v_add_f64 v[48:49], v[64:65], v[10:11]
	v_add_f64 v[52:53], v[50:51], v[46:47]
	;; [unrolled: 1-line block ×4, first 2 shown]
	v_fma_f64 v[60:61], v[18:19], s[2:3], v[78:79]
	v_add_f64 v[46:47], v[74:75], v[10:11]
	v_fma_f64 v[74:75], v[12:13], s[2:3], v[32:33]
	v_add_f64 v[32:33], v[70:71], v[14:15]
	v_add_f64 v[20:21], v[20:21], v[10:11]
	v_fma_f64 v[64:65], v[18:19], s[2:3], v[30:31]
	v_add_f64 v[70:71], v[22:23], v[14:15]
	v_fma_f64 v[72:73], v[12:13], s[2:3], v[92:93]
	v_add_f64 v[66:67], v[66:67], v[8:9]
	v_add_f64 v[62:63], v[62:63], v[8:9]
	v_fma_f64 v[12:13], v[12:13], s[2:3], v[24:25]
	v_add_f64 v[8:9], v[16:17], v[8:9]
	v_add_co_u32 v76, s1, v99, v154
	v_add_co_ci_u32_e64 v77, s1, v162, v155, s1
	v_add_f64 v[18:19], v[38:39], -v[28:29]
	v_add_f64 v[22:23], v[28:29], v[38:39]
	v_add_f64 v[30:31], v[36:37], v[48:49]
	v_add_f64 v[50:51], v[48:49], -v[36:37]
	v_add_f64 v[14:15], v[26:27], v[34:35]
	v_add_f64 v[48:49], v[54:55], v[68:69]
	v_add_f64 v[26:27], v[34:35], -v[26:27]
	v_add_f64 v[34:35], v[44:45], v[46:47]
	v_add_f64 v[46:47], v[46:47], -v[44:45]
	;; [unrolled: 2-line block ×5, first 2 shown]
	v_add_f64 v[28:29], v[68:69], -v[54:55]
	v_add_f64 v[10:11], v[58:59], v[52:53]
	v_add_f64 v[54:55], v[52:53], -v[58:59]
	v_add_f64 v[52:53], v[72:73], v[66:67]
	v_add_f64 v[24:25], v[74:75], v[62:63]
	v_add_f64 v[20:21], v[8:9], -v[12:13]
	v_add_f64 v[16:17], v[12:13], v[8:9]
	v_add_f64 v[12:13], v[62:63], -v[74:75]
	v_add_f64 v[8:9], v[66:67], -v[72:73]
	v_add_co_u32 v58, s1, v99, v150
	v_add_co_ci_u32_e64 v59, s1, v162, v151, s1
	v_add_co_u32 v60, s1, v99, v156
	v_add_co_ci_u32_e64 v61, s1, v162, v157, s1
	global_store_dwordx4 v[136:137], v[4:7], off
	global_store_dwordx4 v[138:139], v[48:51], off offset:512
	global_store_dwordx4 v[140:141], v[44:47], off offset:1024
	;; [unrolled: 1-line block ×3, first 2 shown]
	global_store_dwordx4 v[144:145], v[36:39], off
	global_store_dwordx4 v[146:147], v[32:35], off offset:512
	global_store_dwordx4 v[148:149], v[28:31], off offset:1024
	global_store_dwordx4 v[152:153], v[0:3], off
	global_store_dwordx4 v[158:159], v[52:55], off
	;; [unrolled: 1-line block ×7, first 2 shown]
	s_and_b32 exec_lo, exec_lo, vcc_lo
	s_cbranch_execz .LBB0_20
; %bb.19:
	v_subrev_nc_u32_e32 v0, 64, v160
	v_cndmask_b32_e64 v0, v0, v161, s0
	v_mul_i32_i24_e32 v97, 6, v0
	v_lshlrev_b64 v[0:1], 4, v[97:98]
	v_mov_b32_e32 v97, v98
	v_lshlrev_b64 v[48:49], 4, v[96:97]
	v_add_co_u32 v0, vcc_lo, s8, v0
	v_add_co_ci_u32_e32 v1, vcc_lo, s9, v1, vcc_lo
	v_add_nc_u32_e32 v97, 0x200, v160
	v_add_co_u32 v20, vcc_lo, 0x11e0, v0
	v_add_co_ci_u32_e32 v21, vcc_lo, 0, v1, vcc_lo
	v_add_co_u32 v12, vcc_lo, 0x1000, v0
	v_add_co_ci_u32_e32 v13, vcc_lo, 0, v1, vcc_lo
	;; [unrolled: 2-line block ×3, first 2 shown]
	s_clause 0x5
	global_load_dwordx4 v[0:3], v[12:13], off offset:480
	global_load_dwordx4 v[4:7], v[20:21], off offset:16
	;; [unrolled: 1-line block ×6, first 2 shown]
	s_waitcnt vmcnt(5)
	v_mul_f64 v[24:25], v[116:117], v[2:3]
	v_mul_f64 v[2:3], v[102:103], v[2:3]
	s_waitcnt vmcnt(4)
	v_mul_f64 v[26:27], v[120:121], v[6:7]
	v_mul_f64 v[6:7], v[106:107], v[6:7]
	;; [unrolled: 3-line block ×6, first 2 shown]
	v_fma_f64 v[24:25], v[102:103], v[0:1], -v[24:25]
	v_fma_f64 v[0:1], v[116:117], v[0:1], v[2:3]
	v_fma_f64 v[2:3], v[106:107], v[4:5], -v[26:27]
	v_fma_f64 v[4:5], v[120:121], v[4:5], v[6:7]
	;; [unrolled: 2-line block ×6, first 2 shown]
	v_add_f64 v[22:23], v[24:25], v[6:7]
	v_add_f64 v[26:27], v[0:1], v[8:9]
	;; [unrolled: 1-line block ×4, first 2 shown]
	v_add_f64 v[2:3], v[2:3], -v[10:11]
	v_add_f64 v[4:5], v[4:5], -v[12:13]
	v_add_f64 v[10:11], v[14:15], v[18:19]
	v_add_f64 v[12:13], v[16:17], v[20:21]
	v_add_f64 v[14:15], v[18:19], -v[14:15]
	v_add_f64 v[16:17], v[20:21], -v[16:17]
	;; [unrolled: 1-line block ×4, first 2 shown]
	v_add_f64 v[0:1], v[28:29], v[22:23]
	v_add_f64 v[18:19], v[30:31], v[26:27]
	v_add_f64 v[20:21], v[22:23], -v[10:11]
	v_add_f64 v[24:25], v[26:27], -v[12:13]
	;; [unrolled: 1-line block ×6, first 2 shown]
	v_add_f64 v[42:43], v[14:15], v[2:3]
	v_add_f64 v[4:5], v[16:17], v[4:5]
	v_add_f64 v[14:15], v[6:7], -v[14:15]
	v_add_f64 v[16:17], v[8:9], -v[16:17]
	;; [unrolled: 1-line block ×4, first 2 shown]
	v_add_f64 v[40:41], v[10:11], v[0:1]
	v_add_f64 v[18:19], v[12:13], v[18:19]
	v_add_f64 v[10:11], v[10:11], -v[28:29]
	v_add_f64 v[12:13], v[12:13], -v[30:31]
	v_mul_f64 v[20:21], v[20:21], s[24:25]
	v_mul_f64 v[24:25], v[24:25], s[24:25]
	;; [unrolled: 1-line block ×6, first 2 shown]
	v_add_f64 v[6:7], v[42:43], v[6:7]
	v_add_f64 v[4:5], v[4:5], v[8:9]
	;; [unrolled: 1-line block ×4, first 2 shown]
	v_mul_f64 v[28:29], v[10:11], s[20:21]
	v_mul_f64 v[30:31], v[12:13], s[20:21]
	v_fma_f64 v[8:9], v[10:11], s[20:21], v[20:21]
	v_fma_f64 v[10:11], v[12:13], s[20:21], v[24:25]
	;; [unrolled: 1-line block ×4, first 2 shown]
	v_fma_f64 v[32:33], v[36:37], s[18:19], -v[32:33]
	v_fma_f64 v[14:15], v[14:15], s[16:17], -v[44:45]
	;; [unrolled: 1-line block ×6, first 2 shown]
	v_fma_f64 v[36:37], v[40:41], s[4:5], v[0:1]
	v_fma_f64 v[18:19], v[18:19], s[4:5], v[2:3]
	v_fma_f64 v[22:23], v[22:23], s[6:7], -v[28:29]
	v_fma_f64 v[26:27], v[26:27], s[6:7], -v[30:31]
	v_add_co_u32 v30, vcc_lo, v99, v48
	v_add_co_ci_u32_e32 v31, vcc_lo, v162, v49, vcc_lo
	v_fma_f64 v[40:41], v[6:7], s[2:3], v[12:13]
	v_fma_f64 v[42:43], v[4:5], s[2:3], v[42:43]
	;; [unrolled: 1-line block ×6, first 2 shown]
	v_lshlrev_b64 v[28:29], 4, v[97:98]
	v_add_nc_u32_e32 v97, 0x320, v160
	v_lshlrev_b64 v[38:39], 4, v[97:98]
	v_add_nc_u32_e32 v97, 0x440, v160
	v_add_f64 v[48:49], v[8:9], v[36:37]
	v_add_f64 v[50:51], v[10:11], v[18:19]
	;; [unrolled: 1-line block ×6, first 2 shown]
	v_add_co_u32 v28, vcc_lo, v99, v28
	v_lshlrev_b64 v[4:5], 4, v[97:98]
	v_add_co_ci_u32_e32 v29, vcc_lo, v162, v29, vcc_lo
	v_add_co_u32 v36, vcc_lo, v99, v38
	v_add_co_ci_u32_e32 v37, vcc_lo, v162, v39, vcc_lo
	v_add_nc_u32_e32 v97, 0x560, v160
	v_add_co_u32 v52, vcc_lo, v99, v4
	v_add_co_ci_u32_e32 v53, vcc_lo, v162, v5, vcc_lo
	v_lshlrev_b64 v[38:39], 4, v[97:98]
	v_add_nc_u32_e32 v97, 0x680, v160
	v_add_f64 v[4:5], v[42:43], v[48:49]
	v_add_f64 v[6:7], v[50:51], -v[40:41]
	v_add_f64 v[8:9], v[46:47], v[20:21]
	v_add_f64 v[10:11], v[24:25], -v[44:45]
	v_add_f64 v[12:13], v[16:17], -v[34:35]
	v_add_f64 v[14:15], v[32:33], v[18:19]
	v_add_f64 v[16:17], v[34:35], v[16:17]
	v_add_f64 v[18:19], v[18:19], -v[32:33]
	v_add_f64 v[20:21], v[20:21], -v[46:47]
	v_add_f64 v[22:23], v[44:45], v[24:25]
	v_add_f64 v[24:25], v[48:49], -v[42:43]
	v_add_f64 v[26:27], v[40:41], v[50:51]
	v_lshlrev_b64 v[32:33], 4, v[97:98]
	v_add_nc_u32_e32 v97, 0x7a0, v160
	v_add_co_u32 v34, vcc_lo, v99, v38
	v_add_co_ci_u32_e32 v35, vcc_lo, v162, v39, vcc_lo
	v_lshlrev_b64 v[38:39], 4, v[97:98]
	v_add_co_u32 v32, vcc_lo, v99, v32
	v_add_co_ci_u32_e32 v33, vcc_lo, v162, v33, vcc_lo
	v_add_co_u32 v38, vcc_lo, v99, v38
	v_add_co_ci_u32_e32 v39, vcc_lo, v162, v39, vcc_lo
	global_store_dwordx4 v[30:31], v[0:3], off
	global_store_dwordx4 v[28:29], v[4:7], off
	;; [unrolled: 1-line block ×7, first 2 shown]
.LBB0_20:
	s_endpgm
	.section	.rodata,"a",@progbits
	.p2align	6, 0x0
	.amdhsa_kernel fft_rtc_fwd_len2016_factors_2_2_2_2_2_3_3_7_wgs_224_tpt_112_halfLds_dp_op_CI_CI_unitstride_sbrr_dirReg
		.amdhsa_group_segment_fixed_size 0
		.amdhsa_private_segment_fixed_size 0
		.amdhsa_kernarg_size 104
		.amdhsa_user_sgpr_count 6
		.amdhsa_user_sgpr_private_segment_buffer 1
		.amdhsa_user_sgpr_dispatch_ptr 0
		.amdhsa_user_sgpr_queue_ptr 0
		.amdhsa_user_sgpr_kernarg_segment_ptr 1
		.amdhsa_user_sgpr_dispatch_id 0
		.amdhsa_user_sgpr_flat_scratch_init 0
		.amdhsa_user_sgpr_private_segment_size 0
		.amdhsa_wavefront_size32 1
		.amdhsa_uses_dynamic_stack 0
		.amdhsa_system_sgpr_private_segment_wavefront_offset 0
		.amdhsa_system_sgpr_workgroup_id_x 1
		.amdhsa_system_sgpr_workgroup_id_y 0
		.amdhsa_system_sgpr_workgroup_id_z 0
		.amdhsa_system_sgpr_workgroup_info 0
		.amdhsa_system_vgpr_workitem_id 0
		.amdhsa_next_free_vgpr 191
		.amdhsa_next_free_sgpr 27
		.amdhsa_reserve_vcc 1
		.amdhsa_reserve_flat_scratch 0
		.amdhsa_float_round_mode_32 0
		.amdhsa_float_round_mode_16_64 0
		.amdhsa_float_denorm_mode_32 3
		.amdhsa_float_denorm_mode_16_64 3
		.amdhsa_dx10_clamp 1
		.amdhsa_ieee_mode 1
		.amdhsa_fp16_overflow 0
		.amdhsa_workgroup_processor_mode 1
		.amdhsa_memory_ordered 1
		.amdhsa_forward_progress 0
		.amdhsa_shared_vgpr_count 0
		.amdhsa_exception_fp_ieee_invalid_op 0
		.amdhsa_exception_fp_denorm_src 0
		.amdhsa_exception_fp_ieee_div_zero 0
		.amdhsa_exception_fp_ieee_overflow 0
		.amdhsa_exception_fp_ieee_underflow 0
		.amdhsa_exception_fp_ieee_inexact 0
		.amdhsa_exception_int_div_zero 0
	.end_amdhsa_kernel
	.text
.Lfunc_end0:
	.size	fft_rtc_fwd_len2016_factors_2_2_2_2_2_3_3_7_wgs_224_tpt_112_halfLds_dp_op_CI_CI_unitstride_sbrr_dirReg, .Lfunc_end0-fft_rtc_fwd_len2016_factors_2_2_2_2_2_3_3_7_wgs_224_tpt_112_halfLds_dp_op_CI_CI_unitstride_sbrr_dirReg
                                        ; -- End function
	.section	.AMDGPU.csdata,"",@progbits
; Kernel info:
; codeLenInByte = 15408
; NumSgprs: 29
; NumVgprs: 191
; ScratchSize: 0
; MemoryBound: 1
; FloatMode: 240
; IeeeMode: 1
; LDSByteSize: 0 bytes/workgroup (compile time only)
; SGPRBlocks: 3
; VGPRBlocks: 23
; NumSGPRsForWavesPerEU: 29
; NumVGPRsForWavesPerEU: 191
; Occupancy: 5
; WaveLimiterHint : 1
; COMPUTE_PGM_RSRC2:SCRATCH_EN: 0
; COMPUTE_PGM_RSRC2:USER_SGPR: 6
; COMPUTE_PGM_RSRC2:TRAP_HANDLER: 0
; COMPUTE_PGM_RSRC2:TGID_X_EN: 1
; COMPUTE_PGM_RSRC2:TGID_Y_EN: 0
; COMPUTE_PGM_RSRC2:TGID_Z_EN: 0
; COMPUTE_PGM_RSRC2:TIDIG_COMP_CNT: 0
	.text
	.p2alignl 6, 3214868480
	.fill 48, 4, 3214868480
	.type	__hip_cuid_53e2022dfffcb7f7,@object ; @__hip_cuid_53e2022dfffcb7f7
	.section	.bss,"aw",@nobits
	.globl	__hip_cuid_53e2022dfffcb7f7
__hip_cuid_53e2022dfffcb7f7:
	.byte	0                               ; 0x0
	.size	__hip_cuid_53e2022dfffcb7f7, 1

	.ident	"AMD clang version 19.0.0git (https://github.com/RadeonOpenCompute/llvm-project roc-6.4.0 25133 c7fe45cf4b819c5991fe208aaa96edf142730f1d)"
	.section	".note.GNU-stack","",@progbits
	.addrsig
	.addrsig_sym __hip_cuid_53e2022dfffcb7f7
	.amdgpu_metadata
---
amdhsa.kernels:
  - .args:
      - .actual_access:  read_only
        .address_space:  global
        .offset:         0
        .size:           8
        .value_kind:     global_buffer
      - .offset:         8
        .size:           8
        .value_kind:     by_value
      - .actual_access:  read_only
        .address_space:  global
        .offset:         16
        .size:           8
        .value_kind:     global_buffer
      - .actual_access:  read_only
        .address_space:  global
        .offset:         24
        .size:           8
        .value_kind:     global_buffer
      - .actual_access:  read_only
        .address_space:  global
        .offset:         32
        .size:           8
        .value_kind:     global_buffer
      - .offset:         40
        .size:           8
        .value_kind:     by_value
      - .actual_access:  read_only
        .address_space:  global
        .offset:         48
        .size:           8
        .value_kind:     global_buffer
      - .actual_access:  read_only
        .address_space:  global
        .offset:         56
        .size:           8
        .value_kind:     global_buffer
      - .offset:         64
        .size:           4
        .value_kind:     by_value
      - .actual_access:  read_only
        .address_space:  global
        .offset:         72
        .size:           8
        .value_kind:     global_buffer
      - .actual_access:  read_only
        .address_space:  global
        .offset:         80
        .size:           8
        .value_kind:     global_buffer
      - .actual_access:  read_only
        .address_space:  global
        .offset:         88
        .size:           8
        .value_kind:     global_buffer
      - .actual_access:  write_only
        .address_space:  global
        .offset:         96
        .size:           8
        .value_kind:     global_buffer
    .group_segment_fixed_size: 0
    .kernarg_segment_align: 8
    .kernarg_segment_size: 104
    .language:       OpenCL C
    .language_version:
      - 2
      - 0
    .max_flat_workgroup_size: 224
    .name:           fft_rtc_fwd_len2016_factors_2_2_2_2_2_3_3_7_wgs_224_tpt_112_halfLds_dp_op_CI_CI_unitstride_sbrr_dirReg
    .private_segment_fixed_size: 0
    .sgpr_count:     29
    .sgpr_spill_count: 0
    .symbol:         fft_rtc_fwd_len2016_factors_2_2_2_2_2_3_3_7_wgs_224_tpt_112_halfLds_dp_op_CI_CI_unitstride_sbrr_dirReg.kd
    .uniform_work_group_size: 1
    .uses_dynamic_stack: false
    .vgpr_count:     191
    .vgpr_spill_count: 0
    .wavefront_size: 32
    .workgroup_processor_mode: 1
amdhsa.target:   amdgcn-amd-amdhsa--gfx1030
amdhsa.version:
  - 1
  - 2
...

	.end_amdgpu_metadata
